;; amdgpu-corpus repo=ROCm/Tensile kind=harvested arch=n/a opt=n/a

/******************************************/
/* Function Prefix                        */
/******************************************/



/******************************************/
/* Begin Kernel                           */
/******************************************/

// Component.Signature.SignatureDefault
.amdgcn_target "amdgcn-amd-amdhsa--gfx908"
.text
.protected Cijk_Ailk_Bljk_HSS_BH_MT256x128x32_MI32x32x4x2_SE_1LDSB0_APM1_AF0EM4_AF1EM1_AMAS3_ASE_ASAE01_ASCE01_ASEM1_BL1_DTLA0_DTLB0_DVO0_EPS1_FL0_GLVWA8_GLVWB8_GRVW8_GSU1_GSUASB_ISA908_IU1_K1_KLA_LBSPPA0_LBSPPB128_LPA0_LPB8_LDL1_LRVW4_LDW0_MAC_MDA2_MMFGLC_NTC0_NTD0_NEPBS0_NLCA1_NLCB1_ONLL1_OPLV0_PK0_PAP0_PGR1_PLR1_SIA3_SS0_SU0_SUM0_SUS0_SPO0_SRVW0_SSO0_SVW4_SNLL0_TT2_64_TLDS1_UMLDSA0_UMLDSB1_USFGROn1_VAW2_VSn1_VW2_VWB2_WSGRA1_WSGRB1_WG128_2_1_WGM15
.globl Cijk_Ailk_Bljk_HSS_BH_MT256x128x32_MI32x32x4x2_SE_1LDSB0_APM1_AF0EM4_AF1EM1_AMAS3_ASE_ASAE01_ASCE01_ASEM1_BL1_DTLA0_DTLB0_DVO0_EPS1_FL0_GLVWA8_GLVWB8_GRVW8_GSU1_GSUASB_ISA908_IU1_K1_KLA_LBSPPA0_LBSPPB128_LPA0_LPB8_LDL1_LRVW4_LDW0_MAC_MDA2_MMFGLC_NTC0_NTD0_NEPBS0_NLCA1_NLCB1_ONLL1_OPLV0_PK0_PAP0_PGR1_PLR1_SIA3_SS0_SU0_SUM0_SUS0_SPO0_SRVW0_SSO0_SVW4_SNLL0_TT2_64_TLDS1_UMLDSA0_UMLDSB1_USFGROn1_VAW2_VSn1_VW2_VWB2_WSGRA1_WSGRB1_WG128_2_1_WGM15
.p2align 8
.type Cijk_Ailk_Bljk_HSS_BH_MT256x128x32_MI32x32x4x2_SE_1LDSB0_APM1_AF0EM4_AF1EM1_AMAS3_ASE_ASAE01_ASCE01_ASEM1_BL1_DTLA0_DTLB0_DVO0_EPS1_FL0_GLVWA8_GLVWB8_GRVW8_GSU1_GSUASB_ISA908_IU1_K1_KLA_LBSPPA0_LBSPPB128_LPA0_LPB8_LDL1_LRVW4_LDW0_MAC_MDA2_MMFGLC_NTC0_NTD0_NEPBS0_NLCA1_NLCB1_ONLL1_OPLV0_PK0_PAP0_PGR1_PLR1_SIA3_SS0_SU0_SUM0_SUS0_SPO0_SRVW0_SSO0_SVW4_SNLL0_TT2_64_TLDS1_UMLDSA0_UMLDSB1_USFGROn1_VAW2_VSn1_VW2_VWB2_WSGRA1_WSGRB1_WG128_2_1_WGM15,@function
.section .rodata,#alloc
.p2align 6
.amdhsa_kernel Cijk_Ailk_Bljk_HSS_BH_MT256x128x32_MI32x32x4x2_SE_1LDSB0_APM1_AF0EM4_AF1EM1_AMAS3_ASE_ASAE01_ASCE01_ASEM1_BL1_DTLA0_DTLB0_DVO0_EPS1_FL0_GLVWA8_GLVWB8_GRVW8_GSU1_GSUASB_ISA908_IU1_K1_KLA_LBSPPA0_LBSPPB128_LPA0_LPB8_LDL1_LRVW4_LDW0_MAC_MDA2_MMFGLC_NTC0_NTD0_NEPBS0_NLCA1_NLCB1_ONLL1_OPLV0_PK0_PAP0_PGR1_PLR1_SIA3_SS0_SU0_SUM0_SUS0_SPO0_SRVW0_SSO0_SVW4_SNLL0_TT2_64_TLDS1_UMLDSA0_UMLDSB1_USFGROn1_VAW2_VSn1_VW2_VWB2_WSGRA1_WSGRB1_WG128_2_1_WGM15
  .amdhsa_user_sgpr_kernarg_segment_ptr 1
  .amdhsa_user_sgpr_count 2
  .amdhsa_next_free_vgpr 256 // vgprs
  .amdhsa_next_free_sgpr 58 // sgprs
  .amdhsa_group_segment_fixed_size 58368 // lds bytes
  .amdhsa_private_segment_fixed_size 0
  .amdhsa_system_sgpr_workgroup_id_x 1
  .amdhsa_system_sgpr_workgroup_id_y 1
  .amdhsa_system_sgpr_workgroup_id_z 1
  .amdhsa_system_vgpr_workitem_id 0
  .amdhsa_float_denorm_mode_32 3
  .amdhsa_float_denorm_mode_16_64 3
.end_amdhsa_kernel
.text

/******************************************/
/* Optimizations and Config:              */
/******************************************/
/* ThreadTile= 64 x 2 */
/* SubGroup= 4 x 64 */
/* VectorWidthA=2 */
/* VectorWidthB=2 */
/* GlobalLoadVectorWidthA=8, GlobalLoadVectorWidthB=8 */
/* DirectToLdsA=False */
/* DirectToLdsB=False */
/* UseSgprForGRO=False */
.amdgpu_metadata
---
amdhsa.version:
  - 1
  - 1
amdhsa.target: amdgcn-amd-amdhsa--gfx908
amdhsa.kernels:
  - .name: Cijk_Ailk_Bljk_HSS_BH_MT256x128x32_MI32x32x4x2_SE_1LDSB0_APM1_AF0EM4_AF1EM1_AMAS3_ASE_ASAE01_ASCE01_ASEM1_BL1_DTLA0_DTLB0_DVO0_EPS1_FL0_GLVWA8_GLVWB8_GRVW8_GSU1_GSUASB_ISA908_IU1_K1_KLA_LBSPPA0_LBSPPB128_LPA0_LPB8_LDL1_LRVW4_LDW0_MAC_MDA2_MMFGLC_NTC0_NTD0_NEPBS0_NLCA1_NLCB1_ONLL1_OPLV0_PK0_PAP0_PGR1_PLR1_SIA3_SS0_SU0_SUM0_SUS0_SPO0_SRVW0_SSO0_SVW4_SNLL0_TT2_64_TLDS1_UMLDSA0_UMLDSB1_USFGROn1_VAW2_VSn1_VW2_VWB2_WSGRA1_WSGRB1_WG128_2_1_WGM15
    .symbol: 'Cijk_Ailk_Bljk_HSS_BH_MT256x128x32_MI32x32x4x2_SE_1LDSB0_APM1_AF0EM4_AF1EM1_AMAS3_ASE_ASAE01_ASCE01_ASEM1_BL1_DTLA0_DTLB0_DVO0_EPS1_FL0_GLVWA8_GLVWB8_GRVW8_GSU1_GSUASB_ISA908_IU1_K1_KLA_LBSPPA0_LBSPPB128_LPA0_LPB8_LDL1_LRVW4_LDW0_MAC_MDA2_MMFGLC_NTC0_NTD0_NEPBS0_NLCA1_NLCB1_ONLL1_OPLV0_PK0_PAP0_PGR1_PLR1_SIA3_SS0_SU0_SUM0_SUS0_SPO0_SRVW0_SSO0_SVW4_SNLL0_TT2_64_TLDS1_UMLDSA0_UMLDSB1_USFGROn1_VAW2_VSn1_VW2_VWB2_WSGRA1_WSGRB1_WG128_2_1_WGM15.kd'
    .language:                   OpenCL C
    .language_version:
      - 2
      - 0
    .args:
      - .name:            Tensor2dSizeA
        .size:            8
        .offset:          0
        .value_kind:      by_value
        .value_type:      u64
      - .name:            Tensor2dSizeB
        .size:            8
        .offset:          8
        .value_kind:      by_value
        .value_type:      u64
      - .name:            AddressD
        .size:            8
        .offset:          16
        .value_kind:      by_value
        .value_type:      u64
      - .name:            AddressC
        .size:            8
        .offset:          24
        .value_kind:      by_value
        .value_type:      u64
      - .name:            AddressA
        .size:            8
        .offset:          32
        .value_kind:      by_value
        .value_type:      u64
      - .name:            AddressB
        .size:            8
        .offset:          40
        .value_kind:      by_value
        .value_type:      u64
      - .name:            Alpha
        .size:            4
        .offset:          48
        .value_kind:      by_value
        .value_type:      u32
      - .name:            Beta
        .size:            4
        .offset:          52
        .value_kind:      by_value
        .value_type:      u32
      - .name:            StridesD
        .size:            8
        .offset:          56
        .value_kind:      by_value
        .value_type:      u64
      - .name:            StridesC
        .size:            8
        .offset:          64
        .value_kind:      by_value
        .value_type:      u64
      - .name:            StridesA
        .size:            8
        .offset:          72
        .value_kind:      by_value
        .value_type:      u64
      - .name:            StridesB
        .size:            8
        .offset:          80
        .value_kind:      by_value
        .value_type:      u64
      - .name:            SizesFree
        .size:            12
        .offset:          88
        .value_kind:      by_value
        .value_type:      u96
      - .name:            SizesSum
        .size:            4
        .offset:          100
        .value_kind:      by_value
        .value_type:      u32
      - .name:            NumWorkGroups0
        .size:            4
        .offset:          104
        .value_kind:      by_value
        .value_type:      u32
      - .name:            NumWorkGroups1
        .size:            4
        .offset:          108
        .value_kind:      by_value
        .value_type:      u32
      - .name:            NumFullBlocks
        .size:            4
        .offset:          112
        .value_kind:      by_value
        .value_type:      u32
      - .name:            WgmRemainder1
        .size:            4
        .offset:          116
        .value_kind:      by_value
        .value_type:      u32
      - .name:            MagicNumberWgmRemainder1
        .size:            4
        .offset:          120
        .value_kind:      by_value
        .value_type:      u32
    .group_segment_fixed_size:   58368
    .kernarg_segment_align:      8
    .kernarg_segment_size:       128
    .max_flat_workgroup_size:    256
    .private_segment_fixed_size: 0
    .sgpr_count:                 58
    .sgpr_spill_count:           0
    .vgpr_count:                 256
    .vgpr_spill_count:           0
    .wavefront_size:             64
...
.end_amdgpu_metadata
Cijk_Ailk_Bljk_HSS_BH_MT256x128x32_MI32x32x4x2_SE_1LDSB0_APM1_AF0EM4_AF1EM1_AMAS3_ASE_ASAE01_ASCE01_ASEM1_BL1_DTLA0_DTLB0_DVO0_EPS1_FL0_GLVWA8_GLVWB8_GRVW8_GSU1_GSUASB_ISA908_IU1_K1_KLA_LBSPPA0_LBSPPB128_LPA0_LPB8_LDL1_LRVW4_LDW0_MAC_MDA2_MMFGLC_NTC0_NTD0_NEPBS0_NLCA1_NLCB1_ONLL1_OPLV0_PK0_PAP0_PGR1_PLR1_SIA3_SS0_SU0_SUM0_SUS0_SPO0_SRVW0_SSO0_SVW4_SNLL0_TT2_64_TLDS1_UMLDSA0_UMLDSB1_USFGROn1_VAW2_VSn1_VW2_VWB2_WSGRA1_WSGRB1_WG128_2_1_WGM15:

/******************************************/
/* Asm syntax workarounds                 */
/******************************************/
.macro _v_add_co_u32 dst:req, cc:req, src0:req, src1:req, dpp=
   v_add_co_u32 \dst, \cc, \src0, \src1 \dpp
.endm

.macro _v_add_u32 dst:req, src0:req, src1:req, dpp=
   v_add_u32 \dst, \src0, \src1 \dpp
.endm

.macro _v_add_i32 dst:req, src0:req, src1:req, dpp=
   v_add_i32 \dst, \src0, \src1 \dpp
.endm

.macro _v_addc_co_u32 dst:req, ccOut:req, src0:req, ccIn:req, src1:req, dpp=
   v_addc_co_u32 \dst, \ccOut, \src0, \ccIn, \src1 \dpp
.endm

.macro _v_sub_co_u32 dst:req, cc:req, src0:req, src1:req, dpp=
   v_sub_co_u32 \dst, \cc, \src0, \src1 \dpp
.endm

.macro _v_sub_u32 dst:req, src0:req, src1:req, dpp=
   v_sub_u32 \dst, \src0, \src1 \dpp
.endm

.macro _v_sub_i32 dst:req, src0:req, src1:req, dpp=
   v_sub_i32 \dst, \src0, \src1 \dpp
.endm

.macro _v_add_lshl_u32 dst:req, src0:req, src1:req, shiftCnt:req
    v_add_lshl_u32 \dst, \src0, \src1, \shiftCnt
.endm

.macro _v_lshl_add_u32 dst:req, src0:req, src1:req, shiftCnt:req
    v_lshl_add_u32 \dst, \src0, \src1, \shiftCnt
.endm

.macro _v_lshl_or_b32 dst:req, src0:req, shiftCnt:req, src1:req
    v_lshl_or_b32 \dst, \src0, \shiftCnt, \src1
.endm

.macro _v_dot2acc_f32_f16 dst, src0, src1
v_dot2c_f32_f16 \dst, \src0, \src1
.endm

.macro _v_cmpx_lt_i16 dst, src0, src1=
   v_cmpx_lt_i16 \dst, \src0, \src1 
.endm

.macro _v_cmpx_lt_i32 dst, src0, src1=
   v_cmpx_lt_i32 \dst, \src0, \src1 
.endm

.macro _v_cmpx_lt_i64 dst, src0, src1=
   v_cmpx_lt_i64 \dst, \src0, \src1 
.endm

.macro _v_cmpx_lt_u16 dst, src0, src1=
   v_cmpx_lt_u16 \dst, \src0, \src1 
.endm

.macro _v_cmpx_lt_u32 dst, src0, src1=
   v_cmpx_lt_u32 \dst, \src0, \src1 
.endm

.macro _v_cmpx_lt_u64 dst, src0, src1=
   v_cmpx_lt_u64 \dst, \src0, \src1 
.endm

.macro _v_cmpx_eq_i16 dst, src0, src1=
   v_cmpx_eq_i16 \dst, \src0, \src1 
.endm

.macro _v_cmpx_eq_i32 dst, src0, src1=
   v_cmpx_eq_i32 \dst, \src0, \src1 
.endm

.macro _v_cmpx_eq_i64 dst, src0, src1=
   v_cmpx_eq_i64 \dst, \src0, \src1 
.endm

.macro _v_cmpx_eq_u16 dst, src0, src1=
   v_cmpx_eq_u16 \dst, \src0, \src1 
.endm

.macro _v_cmpx_eq_u32 dst, src0, src1=
   v_cmpx_eq_u32 \dst, \src0, \src1 
.endm

.macro _v_cmpx_eq_u64 dst, src0, src1=
   v_cmpx_eq_u64 \dst, \src0, \src1 
.endm

.macro _v_cmpx_le_i16 dst, src0, src1=
   v_cmpx_le_i16 \dst, \src0, \src1 
.endm

.macro _v_cmpx_le_i32 dst, src0, src1=
   v_cmpx_le_i32 \dst, \src0, \src1 
.endm

.macro _v_cmpx_le_i64 dst, src0, src1=
   v_cmpx_le_i64 \dst, \src0, \src1 
.endm

.macro _v_cmpx_le_u16 dst, src0, src1=
   v_cmpx_le_u16 \dst, \src0, \src1 
.endm

.macro _v_cmpx_le_u32 dst, src0, src1=
   v_cmpx_le_u32 \dst, \src0, \src1 
.endm

.macro _v_cmpx_le_u64 dst, src0, src1=
   v_cmpx_le_u64 \dst, \src0, \src1 
.endm

.macro _v_cmpx_gt_i16 dst, src0, src1=
   v_cmpx_gt_i16 \dst, \src0, \src1 
.endm

.macro _v_cmpx_gt_i32 dst, src0, src1=
   v_cmpx_gt_i32 \dst, \src0, \src1 
.endm

.macro _v_cmpx_gt_i64 dst, src0, src1=
   v_cmpx_gt_i64 \dst, \src0, \src1 
.endm

.macro _v_cmpx_gt_u16 dst, src0, src1=
   v_cmpx_gt_u16 \dst, \src0, \src1 
.endm

.macro _v_cmpx_gt_u32 dst, src0, src1=
   v_cmpx_gt_u32 \dst, \src0, \src1 
.endm

.macro _v_cmpx_gt_u64 dst, src0, src1=
   v_cmpx_gt_u64 \dst, \src0, \src1 
.endm

.macro _v_cmpx_ne_i16 dst, src0, src1=
   v_cmpx_ne_i16 \dst, \src0, \src1 
.endm

.macro _v_cmpx_ne_i32 dst, src0, src1=
   v_cmpx_ne_i32 \dst, \src0, \src1 
.endm

.macro _v_cmpx_ne_i64 dst, src0, src1=
   v_cmpx_ne_i64 \dst, \src0, \src1 
.endm

.macro _v_cmpx_ne_u16 dst, src0, src1=
   v_cmpx_ne_u16 \dst, \src0, \src1 
.endm

.macro _v_cmpx_ne_u32 dst, src0, src1=
   v_cmpx_ne_u32 \dst, \src0, \src1 
.endm

.macro _v_cmpx_ne_u64 dst, src0, src1=
   v_cmpx_ne_u64 \dst, \src0, \src1 
.endm

.macro _v_cmpx_lg_i16 dst, src0, src1=
   v_cmpx_lg_i16 \dst, \src0, \src1 
.endm

.macro _v_cmpx_lg_i32 dst, src0, src1=
   v_cmpx_lg_i32 \dst, \src0, \src1 
.endm

.macro _v_cmpx_lg_i64 dst, src0, src1=
   v_cmpx_lg_i64 \dst, \src0, \src1 
.endm

.macro _v_cmpx_lg_u16 dst, src0, src1=
   v_cmpx_lg_u16 \dst, \src0, \src1 
.endm

.macro _v_cmpx_lg_u32 dst, src0, src1=
   v_cmpx_lg_u32 \dst, \src0, \src1 
.endm

.macro _v_cmpx_lg_u64 dst, src0, src1=
   v_cmpx_lg_u64 \dst, \src0, \src1 
.endm

.macro _v_cmpx_ge_i16 dst, src0, src1=
   v_cmpx_ge_i16 \dst, \src0, \src1 
.endm

.macro _v_cmpx_ge_i32 dst, src0, src1=
   v_cmpx_ge_i32 \dst, \src0, \src1 
.endm

.macro _v_cmpx_ge_i64 dst, src0, src1=
   v_cmpx_ge_i64 \dst, \src0, \src1 
.endm

.macro _v_cmpx_ge_u16 dst, src0, src1=
   v_cmpx_ge_u16 \dst, \src0, \src1 
.endm

.macro _v_cmpx_ge_u32 dst, src0, src1=
   v_cmpx_ge_u32 \dst, \src0, \src1 
.endm

.macro _v_cmpx_ge_u64 dst, src0, src1=
   v_cmpx_ge_u64 \dst, \src0, \src1 
.endm

.macro _v_cmpx_o_i16 dst, src0, src1=
   v_cmpx_o_i16 \dst, \src0, \src1 
.endm

.macro _v_cmpx_o_i32 dst, src0, src1=
   v_cmpx_o_i32 \dst, \src0, \src1 
.endm

.macro _v_cmpx_o_i64 dst, src0, src1=
   v_cmpx_o_i64 \dst, \src0, \src1 
.endm

.macro _v_cmpx_o_u16 dst, src0, src1=
   v_cmpx_o_u16 \dst, \src0, \src1 
.endm

.macro _v_cmpx_o_u32 dst, src0, src1=
   v_cmpx_o_u32 \dst, \src0, \src1 
.endm

.macro _v_cmpx_o_u64 dst, src0, src1=
   v_cmpx_o_u64 \dst, \src0, \src1 
.endm

.macro _v_cmpx_u_i16 dst, src0, src1=
   v_cmpx_u_i16 \dst, \src0, \src1 
.endm

.macro _v_cmpx_u_i32 dst, src0, src1=
   v_cmpx_u_i32 \dst, \src0, \src1 
.endm

.macro _v_cmpx_u_i64 dst, src0, src1=
   v_cmpx_u_i64 \dst, \src0, \src1 
.endm

.macro _v_cmpx_u_u16 dst, src0, src1=
   v_cmpx_u_u16 \dst, \src0, \src1 
.endm

.macro _v_cmpx_u_u32 dst, src0, src1=
   v_cmpx_u_u32 \dst, \src0, \src1 
.endm

.macro _v_cmpx_u_u64 dst, src0, src1=
   v_cmpx_u_u64 \dst, \src0, \src1 
.endm
.macro _v_mac_f32 c:req, a:req, b:req
    v_mac_f32 \c, \a, \b
.endmacro

/* scale global load macros */
.macro _s_load_b32 dst base offset
    s_load_dword \dst \base \offset
.endm

.macro _s_load_b64 dst base offset
    s_load_dwordx2 \dst \base \offset
.endm

.macro _s_load_b128 dst base offset
    s_load_dwordx4 \dst \base \offset
.endm

.macro _s_load_b256 dst base offset
    s_load_dwordx8 \dst \base \offset
.endm

.macro _s_load_b512 dst base offset
    s_load_dwordx16 \dst \base \offset
.endm


/* ds operation macros */
.macro _ds_load_u8 dst src offset
    ds_read_u8 \dst \src \offset
.endm

.macro _ds_load_u8_d16_hi dst src offset
    ds_read_u8_d16_hi \dst \src \offset
.endm

.macro _ds_load_u16 dst src offset
    ds_read_u16 \dst \src \offset
.endm

.macro _ds_load_u16_d16_hi dst src offset
    ds_read_u16_d16_hi \dst \src \offset
.endm

.macro _ds_load_b32 dst src offset
    ds_read_b32 \dst \src \offset
.endm

.macro _ds_load_b64 dst src offset
    ds_read_b64 \dst \src \offset
.endm

.macro _ds_load_b128 dst src offset
    ds_read_b128 \dst \src \offset
.endm

.macro _ds_store_b8 dst src offset
    ds_write_b8 \dst \src \offset
.endm

.macro _ds_store_b8_d16_hi dst src offset
    ds_write_b8_d16_hi \dst \src \offset
.endm

.macro _ds_store_b16 dst src offset
    ds_write_b16 \dst \src \offset
.endm

.macro _ds_store_b16_d16_hi dst src offset
    ds_write_b16_d16_hi \dst \src \offset
.endm

.macro _ds_store_b32 dst src offset
    ds_write_b32 \dst \src \offset
.endm

.macro _ds_store_b64 dst src offset
    ds_write_b64 \dst \src \offset
.endm

.macro _ds_store_b128 dst src offset
    ds_write_b128 \dst \src \offset
.endm

.macro _ds_load2_b32 dst src offset1 offset2
    ds_read2_b32 \dst \src \offset1 \offset2
.endm

.macro _ds_load2_b64 dst src offset1 offset2
    ds_read2_b64 \dst \src \offset1 \offset2
.endm

.macro _ds_store2_b32 dst src offset1 offset2
    ds_write2_b32 \dst \src \offset1 \offset2
.endm

.macro _ds_store2_b64 dst src offset1 offset2
    ds_write2_b64 \dst \src \offset1 \offset2
.endm


/* buffer memory operation macros */
.macro _buffer_load_b32 dst voffset base soffset offen ioffset md0 md1 md2
    buffer_load_dword \dst \voffset \base \soffset \offen \ioffset \md0 \md1 \md2
.endm

.macro _buffer_load_b64 dst voffset base soffset offen ioffset md0 md1 md2
    buffer_load_dwordx2 \dst \voffset \base \soffset \offen \ioffset \md0 \md1 \md2
.endm

.macro _buffer_load_b96 dst voffset base soffset offen ioffset md0 md1 md2
    buffer_load_dwordx3 \dst \voffset \base \soffset \offen \ioffset \md0 \md1 \md2
.endm

.macro _buffer_load_b128 dst voffset base soffset offen ioffset md0 md1 md2
    buffer_load_dwordx4 \dst \voffset \base \soffset \offen \ioffset \md0 \md1 \md2
.endm

.macro _buffer_load_d16_b16 dst voffset base soffset offen ioffset md0 md1 md2
    buffer_load_short_d16 \dst \voffset \base \soffset \offen \ioffset \md0 \md1 \md2
.endm

.macro _buffer_load_d16_hi_b16 dst voffset base soffset offen ioffset md0 md1 md2
    buffer_load_short_d16_hi \dst \voffset \base \soffset \offen \ioffset \md0 \md1 \md2
.endm

.macro _buffer_load_d16_u8 dst voffset base soffset offen ioffset md0 md1 md2
    buffer_load_ubyte_d16 \dst \voffset \base \soffset \offen \ioffset \md0 \md1 \md2
.endm

.macro _buffer_load_d16_hi_u8 dst voffset base soffset offen ioffset md0 md1 md2
    buffer_load_ubyte_d16_hi \dst \voffset \base \soffset \offen \ioffset \md0 \md1 \md2
.endm

.macro _buffer_load_u16 dst voffset base soffset offen ioffset md0 md1 md2
    buffer_load_ushort \dst \voffset \base \soffset \offen \ioffset \md0 \md1 \md2
.endm

.macro _buffer_load_b32_dtl voffset base soffset offen ioffset md0 md1 md2
    buffer_load_dword \voffset \base \soffset \offen \ioffset \md0 \md1 \md2
.endm

.macro _buffer_load_b64_dtl voffset base soffset offen ioffset md0 md1 md2
    buffer_load_dwordx2 \voffset \base \soffset \offen \ioffset \md0 \md1 \md2
.endm

.macro _buffer_load_b128_dtl voffset base soffset offen ioffset md0 md1 md2
    buffer_load_dwordx4 \voffset \base \soffset \offen \ioffset \md0 \md1 \md2
.endm

.macro _buffer_load_u16_dtl voffset base soffset offen ioffset md0 md1 md2
    buffer_load_ushort \voffset \base \soffset \offen \ioffset \md0 \md1 \md2
.endm

.macro _buffer_store_b32 src voffset base soffset offen ioffset md0 md1 md2
    buffer_store_dword \src \voffset \base \soffset \offen \ioffset \md0 \md1 \md2
.endm

.macro _buffer_store_b64 src voffset base soffset offen ioffset md0 md1 md2
    buffer_store_dwordx2 \src \voffset \base \soffset \offen \ioffset \md0 \md1 \md2
.endm

.macro _buffer_store_b96 src voffset base soffset offen ioffset md0 md1 md2
    buffer_store_dwordx3 \src \voffset \base \soffset \offen \ioffset \md0 \md1 \md2
.endm

.macro _buffer_store_b128 src voffset base soffset offen ioffset md0 md1 md2
    buffer_store_dwordx4 \src \voffset \base \soffset \offen \ioffset \md0 \md1 \md2
.endm

.macro _buffer_store_b16 src voffset base soffset offen ioffset md0 md1 md2
    buffer_store_short \src \voffset \base \soffset \offen \ioffset \md0 \md1 \md2
.endm

.macro _buffer_store_d16_hi_b16 src voffset base soffset offen ioffset md0 md1 md2
    buffer_store_short_d16_hi \src \voffset \base \soffset \offen \ioffset \md0 \md1 \md2
.endm

.macro _buffer_store_b8 src voffset base soffset offen ioffset md0 md1 md2
    buffer_store_byte \src \voffset \base \soffset \offen \ioffset \md0 \md1 \md2
.endm

.macro _buffer_store_d16_hi_b8 src voffset base soffset offen ioffset md0 md1 md2
    buffer_store_byte_d16_hi \src \voffset \base \soffset \offen \ioffset \md0 \md1 \md2
.endm

.macro _buffer_atomic_cmpswap_b32 dst voffset base soffset offen ioffset md0 md1 md2
    buffer_atomic_cmpswap \dst \voffset \base \soffset \offen \ioffset \md0 \md1 \md2
.endm

.macro _buffer_atomic_cmpswap_b64 dst voffset base soffset offen ioffset md0 md1 md2
    buffer_atomic_cmpswap_x2 \dst \voffset \base \soffset \offen \ioffset \md0 \md1 \md2
.endm


/* buffer memory operation macros */
.macro _global_load_b32 dst base src ioffset md0 md1 md2
    global_load_dword \dst \base \src \ioffset \md0 \md1 \md2
.endm

.macro _global_load_b64 dst base src ioffset md0 md1 md2
    global_load_dwordx2 \dst \base \src \ioffset \md0 \md1 \md2
.endm

.macro _global_load_b96 dst base src ioffset md0 md1 md2
    global_load_dwordx3 \dst \base \src \ioffset \md0 \md1 \md2
.endm

.macro _global_load_b128 dst base src ioffset md0 md1 md2
    global_load_dwordx4 \dst \base \src \ioffset \md0 \md1 \md2
.endm

.macro _global_load_d16_b16 dst base src ioffset md0 md1 md2
    global_load_short_d16 \dst \base \src \ioffset \md0 \md1 \md2
.endm

.macro _global_load_d16_hi_b16 dst base src ioffset md0 md1 md2
    global_load_short_d16_hi \dst \base \src \ioffset \md0 \md1 \md2
.endm

.macro _global_load_d16_u8 dst base src ioffset md0 md1 md2
    global_load_ubyte_d16 \dst \base \src \ioffset \md0 \md1 \md2
.endm

.macro _global_load_d16_hi_u8 dst base src ioffset md0 md1 md2
    global_load_ubyte_d16_hi \dst \base \src \ioffset \md0 \md1 \md2
.endm

.macro _global_load_u16 dst base src ioffset md0 md1 md2
    global_load_ushort \dst \base \src \ioffset \md0 \md1 \md2
.endm

.macro _global_store_b32 base src src2 md0 md1 md2
    global_store_dword \base \src \src2 \md0 \md1 \md2
.endm

.macro _global_store_b64 base src src2 md0 md1 md2
    global_store_dwordx2 \base \src \src2 \md0 \md1 \md2
.endm

.macro _global_store_b96 base src src2 md0 md1 md2
    global_store_dwordx3 \base \src \src2 \md0 \md1 \md2
.endm

.macro _global_store_b128 base src src2 md0 md1 md2
    global_store_dwordx4 \base \src \src2 \md0 \md1 \md2
.endm

.macro _global_store_d16_b16 base src src2 md0 md1 md2
    global_store_short \base \src \src2 \md0 \md1 \md2
.endm

.macro _global_store_d16_hi_b16 base src src2 md0 md1 md2
    global_store_short_d16_hi \base \src \src2 \md0 \md1 \md2
.endm

.macro _global_store_d16_u8 base src src2 md0 md1 md2
    global_store_ubyte_d16 \base \src \src2 \md0 \md1 \md2
.endm

.macro _global_store_d16_hi_u8 base src src2 md0 md1 md2
    global_store_ubyte_d16_hi \base \src \src2 \md0 \md1 \md2
.endm

.macro _global_store_u16 base src src2 md0 md1 md2
    global_store_ushort \base \src \src2 \md0 \md1 \md2
.endm

.macro _global_atomic_cmpswap_b32 tmp base data src ioffset md
    global_atomic_cmpswap \tmp \base \data \src \ioffset \md
.endm

.macro _global_atomic_cmpswap_b64 tmp base data src ioffset md
    global_atomic_cmpswap_x2 \tmp \base \data \src \ioffset \md
.endm


/******************************************/
/* Magic div and mod functions            */
/******************************************/
.macro V_MAGIC_DIV dstIdx:req, dividend:req, magicNumber:req, magicShift:req, magicA:req
    v_mul_hi_u32 v[\dstIdx+1], \dividend, \magicNumber
    v_mul_lo_u32 v[\dstIdx+0], \dividend, \magicA
    _v_add_u32 v[\dstIdx+0], v[\dstIdx+0], v[\dstIdx+1]
    v_lshrrev_b32 v[\dstIdx+0], \magicShift, v[\dstIdx+0]
.endm

/******************************************/
/* VGPR Assignments                       */
/******************************************/
/* ValuC range: [0-0), serializedStore enabled */
.set vgprValuC, 0
/* ValuA/B   Xn=PLR buffer idx,  In=InnerUnroll idx */
.set vgprValuA_X0_I0, 0
.set vgprValuA_X1_I0, 4
.set vgprG2LA, 24
.set vgprValuB_X0_I0, 8
.set vgprValuB_X1_I0, 12
.set vgprG2LB, 40
.set vgprLocalWriteAddrA, 16
.set vgprLocalWriteAddrB, 17
.set vgprGlobalReadOffsetA, 18
.set vgprGlobalReadOffsetB, 22
.set vgprLocalReadAddrA, 48
.set vgprLocalReadAddrB, 49
.set vgprSerial, 50
/* Num VGPR=256 */
/* Num AccVGPR=128 */

/******************************************/
/* SGPR Assignments                       */
/******************************************/
.set sgprKernArgAddress, 0 // (2)
.set sgprWorkGroup0, 2 // (1)
.set sgprWorkGroup1, 3 // (1)
.set sgprWorkGroup2, 4 // (1)
.set sgprLoopCounterL, 5 // (1)
.set sgprOrigLoopCounter, 6 // (1)
.set sgprSrdA, 8 // (4)
.set sgprSrdB, 12 // (4)
.set sgprSrdD, 16 // (4)
.set sgprSrdC, 20 // (4)
.set sgprTensor2dSizeA, 24 // (2)
.set sgprTensor2dSizeB, 26 // (2)
.set sgprAddressD, 28 // (2)
.set sgprAddressC, 30 // (2)
.set sgprAddressA, 32 // (2)
.set sgprAddressB, 34 // (2)
.set sgprAlpha, 36 // (1)
.set sgprBeta, 37 // (1)
.set sgprStridesD, 38 // (2)
.set sgprStridesC, 40 // (2)
.set sgprStridesA, 42 // (2)
.set sgprStridesB, 44 // (2)
.set sgprSizesFree, 46 // (3)
.set sgprSizesSum, 49 // (1)
.set sgprNumWorkGroups0, 50 // (1)
.set sgprNumWorkGroups1, 51 // (1)
.set sgprNumFullBlocks, 52 // (1)
.set sgprWgmRemainder1, 53 // (1)
.set sgprMagicNumberWgmRemainder1, 54 // (1)
.set sgprShadowLimitA, 0 // (2)
.set sgprShadowLimitB, 28 // (2)
.set sgprGlobalReadIncsA, 7 // (1)
.set sgprGlobalReadIncsB, 30 // (1)
/* max SGPR=58 */

/* Size Assignments */
.set sgprSizeI, sgprSizesFree+0
.set sgprSizeJ, sgprSizesFree+1
.set sgprSizeK, sgprSizesFree+2
.set sgprSizeL, sgprSizesSum+0

/* Stride Assignments */
.set constStrideD0I, 1
.set sgprStrideD1J, sgprStridesD+0
.set sgprStrideDK, sgprStridesD+1
.set constStrideC0I, 1
.set sgprStrideC1J, sgprStridesC+0
.set sgprStrideCK, sgprStridesC+1
.set constStrideA0I, 1
.set sgprStrideAL, sgprStridesA+0
.set sgprStrideAK, sgprStridesA+1
.set constStrideBL, 1
.set sgprStrideB1J, sgprStridesB+0
.set sgprStrideBK, sgprStridesB+1

.set MT0, 256
.set MT1, 128
.set DepthU, 32
.set GSU, 1
.set BpeA, 2
.set BpeALog2, 1
.set BpeB, 2
.set BpeBLog2, 1
/* Number of elements to shift-left SRD */
.set SrdShiftLeftA, 8
.set SrdShiftLeftB, 8
/* 2GB limit - set offsets to -1 to exceed this and clamp */
.set BufferLimitA, 0xffffffff
.set BufferLimitB, 0xffffffff
.set BufferOOB, 0xfffff000

/******************************************/
/* Bits 127:96 of SRD.                    */
/* hex: 0x00020000                        */
/* dst_sel_x (3b): 0                      */
/* dst_sel_y (3b): 0                      */
/* dst_sel_z (3b): 0                      */
/* dst_sel_w (3b): 0                      */
/* num_format (3b): 0                     */
/* data_format (4b): 4                    */
/* user_vm_enable (1b): 0                 */
/* user_vm_mode (1b): 0                   */
/* index_stride (2b): 0                   */
/* add_tid_enable (1b): 0                 */
/* _unusedA (3b): 0                       */
/* nv (1b): 0                             */
/* _unusedB (2b): 0                       */
/* type (2b): 0                           */
/******************************************/
.set Srd127_96, 0x00020000

/* Global Offset A */
.macro GLOBAL_OFFSET_A vgprAddr:req vgprOffset0I:req vgprOffsetL:req vgprTmp:req
v_mul_lo_u32 v[\vgprTmp+0], s[sgprStrideAL], v[\vgprOffsetL] // mul d1 lower
_v_add_co_u32 v[\vgprAddr+0], vcc, v[\vgprOffset0I], v[\vgprTmp+0] // accumulate K lower
_v_add_u32 v[\vgprAddr+0], 0x8, v[\vgprAddr+0]     // add prepad for pointer shift
v_lshlrev_b32 v[\vgprAddr+0], 0x1, v[\vgprAddr+0]  // offset *= bytes/element
.endm

/* Global Offset B */
.macro GLOBAL_OFFSET_B vgprAddr:req vgprOffsetL:req vgprOffset1J:req vgprTmp:req
v_mul_lo_u32 v[\vgprTmp+0], s[sgprStrideB1J], v[\vgprOffset1J] // mul d1 lower
_v_add_co_u32 v[\vgprAddr+0], vcc, v[\vgprOffsetL], v[\vgprTmp+0] // accumulate K lower
_v_add_u32 v[\vgprAddr+0], 0x8, v[\vgprAddr+0]     // add prepad for pointer shift
v_lshlrev_b32 v[\vgprAddr+0], 0x1, v[\vgprAddr+0]  // offset *= bytes/element
.endm

/******************************************/
/* Dynamic Scalar Divide: vQuotient=vDividend/vDivisor; vRemainder=vDividend%vDivisor; */
/******************************************/
.macro DYNAMIC_VECTOR_DIVIDE vQuotient vRemainder vDividend vDivisor vTmp0 vTmp1 sTmp
v_cvt_f32_u32 v[\vQuotient], v[\vDivisor]          // 
v_rcp_f32 v[\vQuotient], v[\vQuotient]             // 
v_mul_f32 v[\vQuotient], 0x4f800000, v[\vQuotient] // 
v_cvt_u32_f32 v[\vQuotient], v[\vQuotient]         // 
v_mul_lo_u32 v[\vRemainder], v[\vDivisor], v[\vQuotient] // 
v_mul_hi_u32 v[\vTmp0], v[\vDivisor], v[\vQuotient] // 
_v_sub_co_u32 v[\vTmp1], vcc, 0x0, v[\vRemainder]  // 
v_cmp_ne_i32 s[\sTmp:\sTmp+1], 0x0, v[\vTmp0]      // 
v_cndmask_b32 v[\vRemainder], v[\vTmp1], v[\vRemainder], s[\sTmp:\sTmp+1] // 
v_mul_hi_u32 v[\vRemainder], v[\vRemainder], v[\vQuotient] // 
_v_sub_co_u32 v[\vTmp0], vcc, v[\vQuotient], v[\vRemainder] // 
_v_add_co_u32 v[\vQuotient], vcc, v[\vQuotient], v[\vRemainder] // 
v_cndmask_b32 v[\vQuotient], v[\vQuotient], v[\vTmp0], s[\sTmp:\sTmp+1] // 
v_mul_hi_u32 v[\vQuotient], v[\vQuotient], v[\vDividend] // 
v_mul_lo_u32 v[\vRemainder], v[\vQuotient], v[\vDivisor] // 
_v_sub_co_u32 v[\vTmp0], vcc, v[\vDividend], v[\vRemainder] // 
v_cmp_ge_u32 s[\sTmp:\sTmp+1], v[\vDividend], v[\vRemainder] // 
_v_add_co_u32 v[\vRemainder], vcc, 0x1, v[\vQuotient] // 
_v_add_co_u32 v[\vTmp1], vcc, -1, v[\vQuotient]    // 
v_cmp_le_u32 vcc, v[\vDivisor], v[\vTmp0]          // 
s_and_b64 vcc, s[\sTmp:\sTmp+1], vcc               // 
v_cndmask_b32 v[\vQuotient], v[\vQuotient], v[\vRemainder], vcc // 
v_cndmask_b32 v[\vQuotient], v[\vTmp1], v[\vQuotient], s[\sTmp:\sTmp+1] // 
v_cmp_ne_i32 vcc, 0x0, v[\vDivisor]                // 
v_cndmask_b32 v[\vQuotient], -1, v[\vQuotient], vcc // final result
v_mul_lo_u32 v[\vRemainder], v[\vQuotient], v[\vDivisor] // 
_v_sub_co_u32 v[\vRemainder], vcc, v[\vDividend], v[\vRemainder] // final result
.endm


	;; [unrolled: 1-line block ×3, first 2 shown]
/******************************************/
/* Allocate Resources                     */
/******************************************/

Cijk_Ailk_Bljk_HSS_BH_MT256x128x32_MI32x32x4x2_SE_1LDSB0_APM1_AF0EM4_AF1EM1_AMAS3_ASE_ASAE01_ASCE01_ASEM1_BL1_DTLA0_DTLB0_DVO0_EPS1_FL0_GLVWA8_GLVWB8_GRVW8_GSU1_GSUASB_ISA908_IU1_K1_KLA_LBSPPA0_LBSPPB128_LPA0_LPB8_LDL1_LRVW4_LDW0_MAC_MDA2_MMFGLC_NTC0_NTD0_NEPBS0_NLCA1_NLCB1_ONLL1_OPLV0_PK0_PAP0_PGR1_PLR1_SIA3_SS0_SU0_SUM0_SUS0_SPO0_SRVW0_SSO0_SVW4_SNLL0_TT2_64_TLDS1_UMLDSA0_UMLDSB1_USFGROn1_VAW2_VSn1_VW2_VWB2_WSGRA1_WSGRB1_WG128_2_1_WGM15_preloaded: // Kernel start when preloading

/* Load Kernel Args */
_s_load_b512 s[24:39], s[sgprKernArgAddress:sgprKernArgAddress+1], 0x0 // 
_s_load_b256 s[40:47], s[sgprKernArgAddress:sgprKernArgAddress+1], 0x40 // 
_s_load_b128 s[48:51], s[sgprKernArgAddress:sgprKernArgAddress+1], 0x60 // 
_s_load_b64 s[52:53], s[sgprKernArgAddress:sgprKernArgAddress+1], 0x70 // 
_s_load_b32 s54, s[sgprKernArgAddress:sgprKernArgAddress+1], 0x78 // 
s_mov_b32 m0, 0xe400                               // LDS clamp at 58368 bytes
v_mov_b32 v[vgprSerial], v0                        // thread serial id

/******************************************/
/* Local Read Addresses                   */
/******************************************/


/* local read addresses: tile assignments a/b */

/*lr0I*/
v_and_b32 v1, 63, v[vgprSerial]                    // 0. thread id in wave: wtid = tid % wavelength(64)
v_and_b32 v0, 31, v1                               // 1. N offset: nIdx = wtid % MI_N(32)
                                                   // 1. N offset: nOffset = nIdx * nStride(1) (multiplier is 1, do nothing)
v_lshrrev_b32 v2, 5, v1                            // 2. block offset: bnIdx = wtid / dividedForBlkId(32)
v_and_b32 v2, 1, v2                                // 2. block offset: bnIdx = bnIdx % num1DBlocks(2)
v_lshlrev_b32 v2, 0x5, v2                          // 2. block offset: bnOffset = bnIdx * strideBlock(32)
_v_add_u32 v0, v2, v0                              // 3. add N and block offset: bnOffset = block and N offset
v_lshlrev_b32 v0, 0x1, v0                          // 4. apply VectorWidth: bnOffset = bnOffset * vw(2)
v_lshrrev_b32 v2, 6, v[vgprSerial]                 // 7. wave offset in N dimen: wtid = tid / dividedForWaveId(64)
v_and_b32 v1, 1, v2                                // 7. wave offset in M dimen: wtid0 = wtid / num1DWaves(2)
v_lshlrev_b32 v1, 0x7, v1                          // 7. wave offset in M dimen: wOffset = wtid0 * W0Stride(128)
_v_add_u32 v0, v1, v0                              // 8. final local read offset: flrOffset = lrOffset + WOffset
/*lr1J*/
v_and_b32 v2, 63, v[vgprSerial]                    // 0. thread id in wave: wtid = tid % wavelength(64)
v_and_b32 v1, 31, v2                               // 1. N offset: nIdx = wtid % MI_N(32)
v_lshlrev_b32 v1, 0x5, v1                          // 1. N offset: nOffset = nIdx * nStride(32)
                                                   // 2. block offset: bnIdx = bnIdx % num1DBlocks(1) is 0. do nothing
v_lshlrev_b32 v1, 0x1, v1                          // 4. apply VectorWidth: bnOffset = bnOffset * vw(2)
v_lshrrev_b32 v3, 7, v[vgprSerial]                 // 7. wave offset in N dimen: wtid = tid / dividedForWaveId(128)
v_and_b32 v2, 1, v3                                // 7. wave offset in M dimen: wtid0 = wtid / num1DWaves(2)
v_lshlrev_b32 v2, 0xb, v2                          // 7. wave offset in M dimen: wOffset = wtid0 * W0Stride(2048)
_v_add_u32 v1, v2, v1                              // 8. final local read offset: flrOffset = lrOffset + WOffset


/* local read addresses: final offsets a */

v_lshlrev_b32 v[vgprLocalReadAddrA], 0x1, v0       // Final Offset: offset = (lro0)*bpe


/* local read addresses: final offsets b */

v_lshlrev_b32 v[vgprLocalReadAddrB], 0x1, v1       // Final Offset: offset = (lro1)*bpe
v_lshrrev_b32 v0, 7, v[vgprLocalReadAddrB]         // Final Offset: padding 8 per block 128
v_lshlrev_b32 v0, 0x4, v0                          // Final Offset: padding 8 per block 128
_v_add_u32 v[vgprLocalReadAddrB], v0, v[vgprLocalReadAddrB] // Final Offset: add padding 8 per block 128


/* local read addresses: declare addresses a */

/* N/A */


/* local read addresses: declare addresses b */

_v_add_co_u32 v[vgprLocalReadAddrB+0], vcc, 0x4000, v[vgprLocalReadAddrB+0] //  += LdsOffsetB (lower)


/* global read addresses: tile offset assignment a */

/* LVCA = 32 */
/* v0 = (local)groA-tile = serial%LVCA (note (wgA*MTA) will be added to SRD) */
/* v1 = groA-unroll = serial/LVCA */
v_and_b32 v2, 63, v[vgprSerial]                    // v2 = v[vgprSerial] % 64
v_lshrrev_b32 v1, 5, v2                            // v1 = v2 / 32
v_and_b32 v0, 31, v2                               // v0 = v2 % 32
v_readfirstlane_b32 s56, v[vgprSerial]             // WaveIdxWavefrontWidth
s_lshr_b32 s56, s56, 0x6                           // WaveId
s_mul_i32 s56, s56, 8                              // Global Read Wave: each wave loads continuous lsp(2)*nrp(4) columns
_v_add_u32 v1, s56, v1                             // Global Read Wave: add back to column index
/* gro-tile *= glvw */
v_lshlrev_b32 v0, 0x3, v0                          // v0 = v0 * 8


/* global read addresses: tile offset assignment b */

/* LVCB = 4 */
/* v2 = (local)groB-tile = serial/LVCB (note (wgB*MTB) will be added to SRD) */
/* v3 = groB-unroll = serial%LVCB */
v_and_b32 v4, 63, v[vgprSerial]                    // v4 = v[vgprSerial] % 64
v_lshrrev_b32 v2, 2, v4                            // v2 = v4 / 4
v_and_b32 v3, 3, v4                                // v3 = v4 % 4
v_readfirstlane_b32 s56, v[vgprSerial]             // WaveIdxWavefrontWidth
s_lshr_b32 s56, s56, 0x6                           // WaveId
s_mul_i32 s56, s56, 32                             // Global Read Wave: each wave loads continuous lsp(16)*nrp(2) columns
_v_add_u32 v2, s56, v2                             // Global Read Wave: add back to column index
/* gro-unroll *= glvw */
v_lshlrev_b32 v3, 0x3, v3                          // v3 = v3 * 8


/******************************************/
/* Local Write Addresses                  */
/******************************************/

/* lwaTileAssignmentA = v0 */

/* lwaTileAssignmentB = v2 */

/* lwaUnrollAssignmentA = v1 */

/* lwaUnrollAssignmentB = v3 */


/* local write addresses: first offset a */

v_mul_u32_u24 v[vgprLocalWriteAddrA], 0x100, v1    // lwAL**(MTA + PAD)
_v_add_lshl_u32 v[vgprLocalWriteAddrA], v0, v[vgprLocalWriteAddrA], 0x1 // lwFOA = (lwAA + lwAL*(MT0I+PAD))*bpe


/* local write addresses: first offset b */

v_mul_u32_u24 v[vgprLocalWriteAddrB], 0x20, v2     // lwBL**(DepthU_Compute + PAD)
_v_add_lshl_u32 v[vgprLocalWriteAddrB], v3, v[vgprLocalWriteAddrB], 0x1 // lwFOB = (lwBB + lwBL*(DepthU+PAD))*bpe
v_lshrrev_b32 v4, 7, v[vgprLocalWriteAddrB]        // padding 8 per block 128
v_lshlrev_b32 v4, 0x4, v4                          // padding 8 per block 128
_v_add_u32 v[vgprLocalWriteAddrB], v4, v[vgprLocalWriteAddrB] // add padding 8 per block 128
_v_add_co_u32 v[vgprLocalWriteAddrB], vcc, 0x4000, v[vgprLocalWriteAddrB] // lwFOB = lwB1J + lwBL*MT1J + LDS_OFFSET_B=8192*2


	;; [unrolled: 1-line block ×7, first 2 shown]
s_waitcnt lgkmcnt(0)                               // wait for 124 bytes of kern args
s_mov_b64 s[sgprSrdC+0:sgprSrdC+0+1], s[sgprAddressC+0:sgprAddressC+0+1] // copy addressC
s_mov_b64 s[sgprSrdD+0:sgprSrdD+0+1], s[sgprAddressD+0:sgprAddressD+0+1] // copy addressD
s_sub_u32 s[sgprSrdA+0], s[sgprAddressA+0], 16     // pre-pad to make room for possible pointer shift
s_subb_u32 s[sgprSrdA+1], s[sgprAddressA+1], 0     // pre-pad to make room for possible pointer shift
s_sub_u32 s[sgprSrdB+0], s[sgprAddressB+0], 16     // pre-pad to make room for possible pointer shift
s_subb_u32 s[sgprSrdB+1], s[sgprAddressB+1], 0     // pre-pad to make room for possible pointer shift

.set AddressD, UNDEF
.set AddressC, UNDEF
.set AddressA, UNDEF
.set AddressB, UNDEF

/* Short circuit condition if Alpha == 0, then sumDims=0 */
v_cmp_eq_f32 vcc, s[sgprAlpha], 0.0                // Alpha == 0.0f ?
s_cbranch_vccz label_AlphaNonZero                  // branch if alpha != 0
s_mov_b32 s[sgprSizesSum+0], 0x0                   // Set summation dim=0 if Alpha == 0
label_AlphaNonZero:


	;; [unrolled: 1-line block ×3, first 2 shown]
/******************************************/
/* Begin setupNewTile, isPap=False           */
/******************************************/


/* global read addresses: work-group */

/* graWorkGroup mapping */
s_mov_b32 s35, 0x8888889L                          // magic number for WGM==15
s_mul_hi_u32 s33, s[sgprWorkGroup1], s35           // s_magic mul
s_mul_i32 s32, s[sgprWorkGroup1], s35              // s_magic mul
s_lshr_b64 s[32:33], s[32:33], 31                  // sMagicDiv
s_mul_i32 s33, s32, 15                             // quotient * non-magic divisor
s_sub_u32 s33, s[sgprWorkGroup1], s33              // WorkGroup1=remainder
s_mul_i32 s33, s33, s[sgprNumWorkGroups0]          // (wg1 % WGM)*nwg0
s_add_u32 s33, s33, s[sgprWorkGroup0]              // wgSerial = wg0 + (wg1 % WGM)*nwg1
s_cmp_ge_u32 s32, s[sgprNumFullBlocks]             // blockId >= numFullBlocks ?
s_cmov_b32 s35, s[sgprMagicNumberWgmRemainder1]    // 
s_cselect_b32 s34, s[sgprWgmRemainder1], 15        // 
s_mul_hi_u32 s3, s33, s35                          // s_magic mul
s_mul_i32 s2, s33, s35                             // s_magic mul
s_lshr_b64 s[2:3], s[2:3], 31                      // sMagicDiv
s_mul_i32 s[sgprWorkGroup1], s[sgprWorkGroup0], s34 // quotient * non-magic divisor
s_sub_u32 s[sgprWorkGroup1], s33, s[sgprWorkGroup1] // WorkGroup1=remainder
s_mul_i32 s32, s32, 15                             // blockId * WGM
s_add_u32 s[sgprWorkGroup1], s[sgprWorkGroup1], s32 // wg1 += blockId * WGM


/* global read addresses: unroll assignment a */

/* v1 */


/* global read addresses: unroll assignment b */

/* v3 */


/* global read addresses: other free assignments */

/* s[sgprWorkGroup2] */


/* global read addresses: tile offsets a */

v_mov_b32 v4, v0                                   // groA0I_0


/* global read addresses: tile offsets b */

v_mov_b32 v5, v2                                   // groB1J_0
_v_add_co_u32 v6, vcc, 16, v5                      // groB1J_1 += LSPB


/* global read addresses: unroll offsets a */

v_mov_b32 v7, v1                                   // groAL_0
_v_add_co_u32 v8, vcc, 2, v7                       // groAL_1 + LSPA
_v_add_co_u32 v9, vcc, 2, v8                       // groAL_2 + LSPA
_v_add_co_u32 v10, vcc, 2, v9                      // groAL_3 + LSPA


/* global read addresses: unroll offsets b */

v_mov_b32 v11, v3                                  // groBL_0


/* global read addresses: shift a */

s_mul_i32 s31, s[sgprWorkGroup0], 256              // WorkGroup[01] * MT
s_sub_u32 s31, s[sgprSizeI], s31                   // edge = Size0I - WG*MT
s_sub_u32 s31, s31, 8                              // edge -= margin(8)
v_mov_b32 v12, s31                                 // edge vgpr = Size0I- WG*MT - margin(8)
v_min_i32 v4, v12, v4                              // offset = (offset < edge) ? offset(v4) : edge(v12)


/* global read addresses: final offsets a */

GLOBAL_OFFSET_A vgprGlobalReadOffsetA+0,  4,  7, 12 // gROA_0_0_0_0
GLOBAL_OFFSET_A vgprGlobalReadOffsetA+1,  4,  8, 12 // gROA_0_0_1_0
GLOBAL_OFFSET_A vgprGlobalReadOffsetA+2,  4,  9, 12 // gROA_0_0_2_0
GLOBAL_OFFSET_A vgprGlobalReadOffsetA+3,  4, 10, 12 // gROA_0_0_3_0


/* global read addresses: final offsets b */

GLOBAL_OFFSET_B vgprGlobalReadOffsetB+0, 11,  5, 7 // gROB_0_0_0_0
GLOBAL_OFFSET_B vgprGlobalReadOffsetB+1, 11,  6, 7 // gROB_0_0_1_0


/* global read addresses: addresses a */

/* max read offset = size[n] * stride[n-1] */
s_mul_hi_u32 s35, s[sgprWorkGroup0], 256           // WorkGroup[01] * MT
s_mul_i32 s34, s[sgprWorkGroup0], 256              // WorkGroup[01] * MT
s_sub_u32 s[sgprShadowLimitA+0], s[sgprTensor2dSizeA], s34 // sub tileStart
s_subb_u32 s[sgprShadowLimitA+1], s[sgprTensor2dSizeA+1], s35 // sub tileStart
s_lshl_b64 s[sgprShadowLimitA:sgprShadowLimitA+1], s[sgprShadowLimitA:sgprShadowLimitA+1], 0x1 // Set limit to use bytes
s_add_u32 s[sgprShadowLimitA+0], s[sgprShadowLimitA+0], 16 // extend limit for pre-pad
s_addc_u32 s[sgprShadowLimitA+1], s[sgprShadowLimitA+1], 0 // extend limit for pre-pad
s_cmp_eq_u32 s[sgprShadowLimitA+1], 0              // are we within 2^32?
s_cselect_b32 s[sgprSrdA+2], s[sgprShadowLimitA+0], BufferLimitA // Move shadow to real if we are within 2^32
s_mul_hi_u32 s33, s[sgprStrideAK], s[sgprWorkGroup2] // Stride*WG
s_mul_i32 s32, s[sgprStrideAK], s[sgprWorkGroup2]  // Stride*WG
s_add_u32 s34, s34, s32                            // accum wg term to tilestart
s_addc_u32 s35, s35, s33                           // accum wg term to tilestart
s_lshl_b64 s[34:35], s[34:35], 0x1                 // tileStart *= BPE
s_add_u32 s[sgprSrdA+0], s[sgprSrdA+0], s34        // SRD base = Address+ tileStart0
s_addc_u32 s[sgprSrdA+1], s[sgprSrdA+1], s35       // SRD base = Address+ tileStart1
s_mov_b32 s[sgprSrdA+3], Srd127_96                 // Set bits 127_96 in SRD


/* global read addresses: addresses b */

/* max read offset = size[n] * stride[n-1] */
s_mul_hi_u32 s35, s[sgprWorkGroup1], 128           // WorkGroup[01] * MT
s_mul_i32 s34, s[sgprWorkGroup1], 128              // WorkGroup[01] * MT
s_mul_hi_u32 s35, s34, s[sgprStrideB1J]            // tlu=0, scaled tile-offset by stride
s_mul_i32 s34, s34, s[sgprStrideB1J]               // tlu=0, scaled tile-offset by stride
s_sub_u32 s[sgprShadowLimitB+0], s[sgprTensor2dSizeB], s34 // sub tileStart
s_subb_u32 s[sgprShadowLimitB+1], s[sgprTensor2dSizeB+1], s35 // sub tileStart
s_lshl_b64 s[sgprShadowLimitB:sgprShadowLimitB+1], s[sgprShadowLimitB:sgprShadowLimitB+1], 0x1 // Set limit to use bytes
s_add_u32 s[sgprShadowLimitB+0], s[sgprShadowLimitB+0], 16 // extend limit for pre-pad
s_addc_u32 s[sgprShadowLimitB+1], s[sgprShadowLimitB+1], 0 // extend limit for pre-pad
s_cmp_eq_u32 s[sgprShadowLimitB+1], 0              // are we within 2^32?
s_cselect_b32 s[sgprSrdB+2], s[sgprShadowLimitB+0], BufferLimitB // Move shadow to real if we are within 2^32
s_mul_hi_u32 s33, s[sgprStrideBK], s[sgprWorkGroup2] // Stride*WG
s_mul_i32 s32, s[sgprStrideBK], s[sgprWorkGroup2]  // Stride*WG
s_add_u32 s34, s34, s32                            // accum wg term to tilestart
s_addc_u32 s35, s35, s33                           // accum wg term to tilestart
s_lshl_b64 s[34:35], s[34:35], 0x1                 // tileStart *= BPE
s_add_u32 s[sgprSrdB+0], s[sgprSrdB+0], s34        // SRD base = Address+ tileStart0
s_addc_u32 s[sgprSrdB+1], s[sgprSrdB+1], s35       // SRD base = Address+ tileStart1
s_mov_b32 s[sgprSrdB+3], Srd127_96                 // Set bits 127_96 in SRD


/* global read addresses: increments a */

s_mul_i32 s[sgprGlobalReadIncsA+0], DepthU*BpeA, s[sgprStrideAL] // incrA unrollIdx)


/* global read addresses: increments b */

s_mov_b32 s[sgprGlobalReadIncsB+0], DepthU*BpeB    // incrB (unrollIdx)

/* declare loop num iterations */


s_lshr_b32 s[sgprLoopCounterL], s[sgprSizesSum+0], 5 // s[sgprLoopCounterL] = s[sgprSizesSum+0] / 32
s_mov_b32 s[sgprOrigLoopCounter], s[sgprLoopCounterL] // copy loop counter

/* local read addresses: init pointers a */


/* localReadInitPointers */

/* local read addresses: init pointers b */


/* localReadInitPointers */


/* prefetch: global -> local */

s_cmp_eq_u32 s[sgprLoopCounterL], 0                // at last iteration?
s_cbranch_scc1 ShadowInitStart_10                  // skip to ShadowInitStart iter b/c numIter==0


_buffer_load_b128 v[vgprG2LA+0:vgprG2LA+0+3], v[vgprGlobalReadOffsetA+0], s[sgprSrdA:sgprSrdA+3], 0, offen offset:0 // G -> Reg 0_0_0_0
_buffer_load_b128 v[vgprG2LA+4:vgprG2LA+4+3], v[vgprGlobalReadOffsetA+1], s[sgprSrdA:sgprSrdA+3], 0, offen offset:0 // G -> Reg 0_0_1_0
_buffer_load_b128 v[vgprG2LA+8:vgprG2LA+8+3], v[vgprGlobalReadOffsetA+2], s[sgprSrdA:sgprSrdA+3], 0, offen offset:0 // G -> Reg 0_0_2_0
_buffer_load_b128 v[vgprG2LA+12:vgprG2LA+12+3], v[vgprGlobalReadOffsetA+3], s[sgprSrdA:sgprSrdA+3], 0, offen offset:0 // G -> Reg 0_0_3_0


_buffer_load_b128 v[vgprG2LB+0:vgprG2LB+0+3], v[vgprGlobalReadOffsetB+0], s[sgprSrdB:sgprSrdB+3], 0, offen offset:0 // G -> Reg 0_0_0_0
_buffer_load_b128 v[vgprG2LB+4:vgprG2LB+4+3], v[vgprGlobalReadOffsetB+1], s[sgprSrdB:sgprSrdB+3], 0, offen offset:0 // G -> Reg 0_0_1_0


/* global read inc A loopL */
s_add_u32 s[sgprSrdA+0], s[sgprSrdA+0], s[sgprGlobalReadIncsA+0] // gra SRD += inc(lower)
s_addc_u32  s[sgprSrdA+1], s[sgprSrdA+1], 0        // gra SRD += inc(upper)
s_sub_u32 s[sgprShadowLimitA+0], s[sgprShadowLimitA+0], s[sgprGlobalReadIncsA+0] // limit -= inc)
s_subb_u32 s[sgprShadowLimitA+1], s[sgprShadowLimitA+1], 0 // limit -= inc)
s_cmp_eq_u32 s[sgprShadowLimitA+1], 0              // are we within 2^32?
s_cmov_b32 s[sgprSrdA+2], s[sgprShadowLimitA+0]    // Move shadow to real if we are within 2^32

/* global read inc B loopL */
s_add_u32 s[sgprSrdB+0], s[sgprSrdB+0], s[sgprGlobalReadIncsB+0] // gra SRD += inc(lower)
s_addc_u32  s[sgprSrdB+1], s[sgprSrdB+1], 0        // gra SRD += inc(upper)
s_sub_u32 s[sgprShadowLimitB+0], s[sgprShadowLimitB+0], s[sgprGlobalReadIncsB+0] // limit -= inc)
s_subb_u32 s[sgprShadowLimitB+1], s[sgprShadowLimitB+1], 0 // limit -= inc)
s_cmp_eq_u32 s[sgprShadowLimitB+1], 0              // are we within 2^32?
s_cmov_b32 s[sgprSrdB+2], s[sgprShadowLimitB+0]    // Move shadow to real if we are within 2^32


/******************************************/
/* End setupNewTile, isPap=False             */
/******************************************/

ShadowInitStart_10: // 

s_mov_b32 s[sgprSrdD+2], BufferOOB                 // 
s_mov_b32 s[sgprSrdD+3], Srd127_96                 // Set bits 127_96 in post-loop SRD

s_mov_b32 s[sgprSrdC+2], BufferOOB                 // 
s_mov_b32 s[sgprSrdC+3], Srd127_96                 // Set bits 127_96 in post-loop SRD


s_mul_i32 s34, MT1, s[sgprWorkGroup1]              // <- wg1*MT1
s_mul_hi_u32 s33, s34, s[sgprStrideC1J]            // CScale s34 by Stride
s_mul_i32 s32, s34, s[sgprStrideC1J]               // CScale s34 by Stride
s_lshl_b64 s[32:33], s[32:33], 2                   // scale by bpe
s_add_u32 s[sgprSrdC+0], s[sgprSrdC+0], s32        // add lo to SRD
s_addc_u32 s[sgprSrdC+1], s[sgprSrdC+1], s33       // add hi to SRD
s_mul_hi_u32 s33, s34, s[sgprStrideD1J]            // Scale s34 by Stride
s_mul_i32 s32, s34, s[sgprStrideD1J]               // Scale s34 by Stride
s_lshl_b64 s[32:33], s[32:33], 2                   // scale by bpe
s_add_u32 s[sgprSrdD+0], s[sgprSrdD+0], s32        // add lo to SRD
s_addc_u32 s[sgprSrdD+1], s[sgprSrdD+1], s33       // add hi to SRD

s_mul_hi_u32 s33, s[sgprWorkGroup2], s[sgprStrideCK] // CScale s[sgprWorkGroup2] by Stride
s_mul_i32 s32, s[sgprWorkGroup2], s[sgprStrideCK]  // CScale s[sgprWorkGroup2] by Stride
s_lshl_b64 s[32:33], s[32:33], 2                   // scale by bpe
s_add_u32 s[sgprSrdC+0], s[sgprSrdC+0], s32        // add lo to SRD
s_addc_u32 s[sgprSrdC+1], s[sgprSrdC+1], s33       // add hi to SRD
s_mul_hi_u32 s33, s[sgprWorkGroup2], s[sgprStrideDK] // Scale s[sgprWorkGroup2] by Stride
s_mul_i32 s32, s[sgprWorkGroup2], s[sgprStrideDK]  // Scale s[sgprWorkGroup2] by Stride
s_lshl_b64 s[32:33], s[32:33], 2                   // scale by bpe
s_add_u32 s[sgprSrdD+0], s[sgprSrdD+0], s32        // add lo to SRD
s_addc_u32 s[sgprSrdD+1], s[sgprSrdD+1], s33       // add hi to SRD


	;; [unrolled: 1-line block ×3, first 2 shown]
/* initC: remove C-tile 0-0 from pool */

/* initC: remove AB-tile 0-16 from pool */
v_accvgpr_write acc0, 0x0                          // initC
v_accvgpr_write acc1, 0x0                          // initC
v_accvgpr_write acc2, 0x0                          // initC
v_accvgpr_write acc3, 0x0                          // initC
v_accvgpr_write acc4, 0x0                          // initC
v_accvgpr_write acc5, 0x0                          // initC
v_accvgpr_write acc6, 0x0                          // initC
v_accvgpr_write acc7, 0x0                          // initC
v_accvgpr_write acc8, 0x0                          // initC
v_accvgpr_write acc9, 0x0                          // initC
v_accvgpr_write acc10, 0x0                         // initC
v_accvgpr_write acc11, 0x0                         // initC
v_accvgpr_write acc12, 0x0                         // initC
v_accvgpr_write acc13, 0x0                         // initC
v_accvgpr_write acc14, 0x0                         // initC
v_accvgpr_write acc15, 0x0                         // initC
v_accvgpr_write acc16, 0x0                         // initC
v_accvgpr_write acc17, 0x0                         // initC
v_accvgpr_write acc18, 0x0                         // initC
v_accvgpr_write acc19, 0x0                         // initC
v_accvgpr_write acc20, 0x0                         // initC
v_accvgpr_write acc21, 0x0                         // initC
v_accvgpr_write acc22, 0x0                         // initC
v_accvgpr_write acc23, 0x0                         // initC
v_accvgpr_write acc24, 0x0                         // initC
v_accvgpr_write acc25, 0x0                         // initC
v_accvgpr_write acc26, 0x0                         // initC
v_accvgpr_write acc27, 0x0                         // initC
v_accvgpr_write acc28, 0x0                         // initC
v_accvgpr_write acc29, 0x0                         // initC
v_accvgpr_write acc30, 0x0                         // initC
v_accvgpr_write acc31, 0x0                         // initC
v_accvgpr_write acc32, 0x0                         // initC
v_accvgpr_write acc33, 0x0                         // initC
v_accvgpr_write acc34, 0x0                         // initC
v_accvgpr_write acc35, 0x0                         // initC
v_accvgpr_write acc36, 0x0                         // initC
v_accvgpr_write acc37, 0x0                         // initC
v_accvgpr_write acc38, 0x0                         // initC
v_accvgpr_write acc39, 0x0                         // initC
v_accvgpr_write acc40, 0x0                         // initC
v_accvgpr_write acc41, 0x0                         // initC
v_accvgpr_write acc42, 0x0                         // initC
v_accvgpr_write acc43, 0x0                         // initC
v_accvgpr_write acc44, 0x0                         // initC
v_accvgpr_write acc45, 0x0                         // initC
v_accvgpr_write acc46, 0x0                         // initC
v_accvgpr_write acc47, 0x0                         // initC
v_accvgpr_write acc48, 0x0                         // initC
v_accvgpr_write acc49, 0x0                         // initC
v_accvgpr_write acc50, 0x0                         // initC
v_accvgpr_write acc51, 0x0                         // initC
v_accvgpr_write acc52, 0x0                         // initC
v_accvgpr_write acc53, 0x0                         // initC
v_accvgpr_write acc54, 0x0                         // initC
v_accvgpr_write acc55, 0x0                         // initC
v_accvgpr_write acc56, 0x0                         // initC
v_accvgpr_write acc57, 0x0                         // initC
v_accvgpr_write acc58, 0x0                         // initC
v_accvgpr_write acc59, 0x0                         // initC
v_accvgpr_write acc60, 0x0                         // initC
v_accvgpr_write acc61, 0x0                         // initC
v_accvgpr_write acc62, 0x0                         // initC
v_accvgpr_write acc63, 0x0                         // initC
v_accvgpr_write acc64, 0x0                         // initC
v_accvgpr_write acc65, 0x0                         // initC
v_accvgpr_write acc66, 0x0                         // initC
v_accvgpr_write acc67, 0x0                         // initC
v_accvgpr_write acc68, 0x0                         // initC
v_accvgpr_write acc69, 0x0                         // initC
v_accvgpr_write acc70, 0x0                         // initC
v_accvgpr_write acc71, 0x0                         // initC
v_accvgpr_write acc72, 0x0                         // initC
v_accvgpr_write acc73, 0x0                         // initC
v_accvgpr_write acc74, 0x0                         // initC
v_accvgpr_write acc75, 0x0                         // initC
v_accvgpr_write acc76, 0x0                         // initC
v_accvgpr_write acc77, 0x0                         // initC
v_accvgpr_write acc78, 0x0                         // initC
v_accvgpr_write acc79, 0x0                         // initC
v_accvgpr_write acc80, 0x0                         // initC
v_accvgpr_write acc81, 0x0                         // initC
v_accvgpr_write acc82, 0x0                         // initC
v_accvgpr_write acc83, 0x0                         // initC
v_accvgpr_write acc84, 0x0                         // initC
v_accvgpr_write acc85, 0x0                         // initC
v_accvgpr_write acc86, 0x0                         // initC
v_accvgpr_write acc87, 0x0                         // initC
v_accvgpr_write acc88, 0x0                         // initC
v_accvgpr_write acc89, 0x0                         // initC
v_accvgpr_write acc90, 0x0                         // initC
v_accvgpr_write acc91, 0x0                         // initC
v_accvgpr_write acc92, 0x0                         // initC
v_accvgpr_write acc93, 0x0                         // initC
v_accvgpr_write acc94, 0x0                         // initC
v_accvgpr_write acc95, 0x0                         // initC
v_accvgpr_write acc96, 0x0                         // initC
v_accvgpr_write acc97, 0x0                         // initC
v_accvgpr_write acc98, 0x0                         // initC
v_accvgpr_write acc99, 0x0                         // initC
v_accvgpr_write acc100, 0x0                        // initC
v_accvgpr_write acc101, 0x0                        // initC
v_accvgpr_write acc102, 0x0                        // initC
v_accvgpr_write acc103, 0x0                        // initC
v_accvgpr_write acc104, 0x0                        // initC
v_accvgpr_write acc105, 0x0                        // initC
v_accvgpr_write acc106, 0x0                        // initC
v_accvgpr_write acc107, 0x0                        // initC
v_accvgpr_write acc108, 0x0                        // initC
v_accvgpr_write acc109, 0x0                        // initC
v_accvgpr_write acc110, 0x0                        // initC
v_accvgpr_write acc111, 0x0                        // initC
v_accvgpr_write acc112, 0x0                        // initC
v_accvgpr_write acc113, 0x0                        // initC
v_accvgpr_write acc114, 0x0                        // initC
v_accvgpr_write acc115, 0x0                        // initC
v_accvgpr_write acc116, 0x0                        // initC
v_accvgpr_write acc117, 0x0                        // initC
v_accvgpr_write acc118, 0x0                        // initC
v_accvgpr_write acc119, 0x0                        // initC
v_accvgpr_write acc120, 0x0                        // initC
v_accvgpr_write acc121, 0x0                        // initC
v_accvgpr_write acc122, 0x0                        // initC
v_accvgpr_write acc123, 0x0                        // initC
v_accvgpr_write acc124, 0x0                        // initC
v_accvgpr_write acc125, 0x0                        // initC
v_accvgpr_write acc126, 0x0                        // initC
v_accvgpr_write acc127, 0x0                        // initC

s_cmp_eq_u32 s[sgprLoopCounterL], 0                // at last iteration?

/* after InitC, skip to end of prefetch last iter if numIter==0 */
s_cbranch_scc0 label_NoBranch_11                   // Only branch on scc1
s_getpc_B64 s[32:33]                               // addr of next instr
s_add_i32 s34, PrefetchGlobalLastIterEnd_5, 0x4    // target branch offset
s_add_u32 s32, s32, s34                            // add target branch offset
s_addc_u32 s33, s33, 0                             // add high and carry
s_setpc_b64 s[32:33]                               // branch to PrefetchGlobalLastIterEnd_5
label_NoBranch_11:

s_waitcnt vmcnt(0)                                 // lgkmcnt=-1 vmcnt=0 8wait for global read


/* local write a */
_ds_store_b128 v[vgprLocalWriteAddrA], v[vgprG2LA+0:vgprG2LA+0+3] offset:0 // lwoA_0_0_0_0 = (0*LSCA) + (0*LSPA)(*MT0I+PAD) = 0
_ds_store_b128 v[vgprLocalWriteAddrA], v[vgprG2LA+4:vgprG2LA+4+3] offset:1024 // lwoA_0_0_1_0 = (0*LSCA) + (1*LSPA)(*MT0I+PAD) = 1024
_ds_store_b128 v[vgprLocalWriteAddrA], v[vgprG2LA+8:vgprG2LA+8+3] offset:2048 // lwoA_0_0_2_0 = (0*LSCA) + (2*LSPA)(*MT0I+PAD) = 2048
_ds_store_b128 v[vgprLocalWriteAddrA], v[vgprG2LA+12:vgprG2LA+12+3] offset:3072 // lwoA_0_0_3_0 = (0*LSCA) + (3*LSPA)(*MT0I+PAD) = 3072

/* local write b */
_ds_store_b128 v[vgprLocalWriteAddrB], v[vgprG2LB+0:vgprG2LB+0+3] offset:0 // lwoB_0_0_0_0 = (0*LSCB)*(MT1J+PAD) + (0*LSPB) = 0
_ds_store_b128 v[vgprLocalWriteAddrB], v[vgprG2LB+4:vgprG2LB+4+3] offset:1152 // lwoB_0_0_1_0 = (0*LSCB)*(MT1J+PAD) + (1*LSPB) = 1152


/* local write swap a */


/* (EPS=1) local write swap internal offset -> 32768 */


/* local write swap b */


/* (EPS=1) local write swap internal offset -> 32768 */


	;; [unrolled: 1-line block ×3, first 2 shown]
s_waitcnt lgkmcnt(0)                               // lgkmcnt=0 vmcnt=-10prefetch wait for local write

s_waitcnt lgkmcnt(0) & vmcnt(0)                    // force waitcnt0
s_barrier //


/* local read prefetch a */

_ds_load_u16 v[vgprValuA_X0_I0+0], v[vgprLocalReadAddrA] offset:0 // L -> Reg lro=0 swapByteOffset=0 ti=256 vIdx=0 rIdx=0 oIdx=0 buffer=0 iui=0
_ds_load_u16_d16_hi v51, v[vgprLocalReadAddrA] offset:512 // L -> Reg lro=0 swapByteOffset=0 ti=256 vIdx=0 rIdx=1 oIdx=0 buffer=0 iui=0
_ds_load_u16 v[vgprValuA_X0_I0+1], v[vgprLocalReadAddrA] offset:1024 // L -> Reg lro=0 swapByteOffset=0 ti=256 vIdx=0 rIdx=2 oIdx=0 buffer=0 iui=0
_ds_load_u16_d16_hi v52, v[vgprLocalReadAddrA] offset:1536 // L -> Reg lro=0 swapByteOffset=0 ti=256 vIdx=0 rIdx=3 oIdx=0 buffer=0 iui=0
_ds_load_u16 v[vgprValuA_X0_I0+2], v[vgprLocalReadAddrA] offset:2 // L -> Reg lro=0 swapByteOffset=0 ti=256 vIdx=0 rIdx=0 oIdx=0 buffer=0 iui=0
_ds_load_u16_d16_hi v53, v[vgprLocalReadAddrA] offset:514 // L -> Reg lro=0 swapByteOffset=0 ti=256 vIdx=0 rIdx=1 oIdx=0 buffer=0 iui=0
_ds_load_u16 v[vgprValuA_X0_I0+3], v[vgprLocalReadAddrA] offset:1026 // L -> Reg lro=0 swapByteOffset=0 ti=256 vIdx=0 rIdx=2 oIdx=0 buffer=0 iui=0
_ds_load_u16_d16_hi v54, v[vgprLocalReadAddrA] offset:1538 // L -> Reg lro=0 swapByteOffset=0 ti=256 vIdx=0 rIdx=3 oIdx=0 buffer=0 iui=0


/* local read prefetch b */

_ds_load_b64 v[vgprValuB_X0_I0+0:vgprValuB_X0_I0+0+1], v[vgprLocalReadAddrB] offset:0 // L -> Reg lro=0 swapByteOffset=0 ti=128 vIdx=0 rIdx=0 oIdx=0 buffer=0 iui=0
_ds_load_b64 v[vgprValuB_X0_I0+2:vgprValuB_X0_I0+2+1], v[vgprLocalReadAddrB] offset:64 // L -> Reg lro=0 swapByteOffset=0 ti=128 vIdx=0 rIdx=0 oIdx=0 buffer=0 iui=0


/* local read inc a */

/* N/A, lro->1024 */
/* self.localReadDoCntA 1 self.localReadDoCntB 1 */


/* local read inc b */

/* N/A, lro->4 */
/* self.localReadDoCntA 1 self.localReadDoCntB 1 */


	;; [unrolled: 1-line block ×3, first 2 shown]
/******************************************/
/* Unrolled Loop(s) - Begin               */
/******************************************/

openLoopL_12:
s_cmp_le_u32 s[sgprLoopCounterL], 0x1              // LoopCounterL < EndCounter
s_cbranch_scc1 LoopEndL_2                          // do not enter LoopL
LoopBeginL_1:


/******************************************/
/* Unrolled Loop 1/2 - Begin              */
/******************************************/

label_0013: // LoopCopy1 


/* Begin Each Unroll: Check VGPR.checkin for INT8 LW */


	;; [unrolled: 1-line block ×3, first 2 shown]
/* iter 0 */

/*  grEndMfmaIndex:5, lwStartMfmaIndex:22, lwEndMfmaIndex:27  */
/*  numMfmaForLR:2, barrierMfmaIndex:29 */
/*  mfmaIndex:0  */
_buffer_load_b128 v[vgprG2LA+0:vgprG2LA+0+3], v[vgprGlobalReadOffsetA+0], s[sgprSrdA:sgprSrdA+3], 0, offen offset:0 // G -> Reg 0_0_0_0
s_waitcnt lgkmcnt(0)                               // lgkmcnt=0 vmcnt=-1wait for prior local read local write old=0, new=0 newLW=0 newLR=0
/* pack scheduling: packAIdx:2, packBIdx:0 */
v_or_b32 v[vgprValuA_X0_I0+0], v[vgprValuA_X0_I0+0], v51 // pack two half Vgpr to one Vgpr
v_or_b32 v[vgprValuA_X0_I0+1], v[vgprValuA_X0_I0+1], v52 // pack two half Vgpr to one Vgpr
	;; [unrolled: 1-line block ×4, first 2 shown]
v_mfma_f32_32x32x4f16 a[0+0:31+0], v[vgprValuA_X0_I0+0+0+0:vgprValuA_X0_I0+0+0+0+1], v[vgprValuB_X0_I0+0+0+0:vgprValuB_X0_I0+0+0+0+1], a[0:31]
/*  mfmaIndex:1  */
_ds_load_u16 v[vgprValuA_X1_I0+0], v[vgprLocalReadAddrA] offset:2048 // L -> Reg lro=1024 swapByteOffset=0 ti=256 vIdx=0 rIdx=0 oIdx=0 buffer=1 iui=0
_ds_load_u16_d16_hi v55, v[vgprLocalReadAddrA] offset:2560 // L -> Reg lro=1024 swapByteOffset=0 ti=256 vIdx=0 rIdx=1 oIdx=0 buffer=1 iui=0
_ds_load_u16 v[vgprValuA_X1_I0+1], v[vgprLocalReadAddrA] offset:3072 // L -> Reg lro=1024 swapByteOffset=0 ti=256 vIdx=0 rIdx=2 oIdx=0 buffer=1 iui=0
_ds_load_u16_d16_hi v56, v[vgprLocalReadAddrA] offset:3584 // L -> Reg lro=1024 swapByteOffset=0 ti=256 vIdx=0 rIdx=3 oIdx=0 buffer=1 iui=0
_ds_load_b64 v[vgprValuB_X1_I0+0:vgprValuB_X1_I0+0+1], v[vgprLocalReadAddrB] offset:8 // L -> Reg lro=4 swapByteOffset=0 ti=128 vIdx=0 rIdx=0 oIdx=0 buffer=1 iui=0
_ds_load_u16 v[vgprValuA_X1_I0+2], v[vgprLocalReadAddrA] offset:2050 // L -> Reg lro=1024 swapByteOffset=0 ti=256 vIdx=0 rIdx=0 oIdx=0 buffer=1 iui=0
_buffer_load_b128 v[vgprG2LA+4:vgprG2LA+4+3], v[vgprGlobalReadOffsetA+1], s[sgprSrdA:sgprSrdA+3], 0, offen offset:0 // G -> Reg 0_0_1_0
v_mfma_f32_32x32x4f16 a[32+0:63+0], v[vgprValuA_X0_I0+2+0+0:vgprValuA_X0_I0+2+0+0+1], v[vgprValuB_X0_I0+0+0+0:vgprValuB_X0_I0+0+0+0+1], a[32:63]
/*  mfmaIndex:2  */
_ds_load_u16_d16_hi v57, v[vgprLocalReadAddrA] offset:2562 // L -> Reg lro=1024 swapByteOffset=0 ti=256 vIdx=0 rIdx=1 oIdx=0 buffer=1 iui=0
_ds_load_u16 v[vgprValuA_X1_I0+3], v[vgprLocalReadAddrA] offset:3074 // L -> Reg lro=1024 swapByteOffset=0 ti=256 vIdx=0 rIdx=2 oIdx=0 buffer=1 iui=0
_ds_load_u16_d16_hi v58, v[vgprLocalReadAddrA] offset:3586 // L -> Reg lro=1024 swapByteOffset=0 ti=256 vIdx=0 rIdx=3 oIdx=0 buffer=1 iui=0
_ds_load_b64 v[vgprValuB_X1_I0+2:vgprValuB_X1_I0+2+1], v[vgprLocalReadAddrB] offset:72 // L -> Reg lro=4 swapByteOffset=0 ti=128 vIdx=0 rIdx=0 oIdx=0 buffer=1 iui=0
/* localReadsVacancy: latencyLeft 5 */
_buffer_load_b128 v[vgprG2LA+8:vgprG2LA+8+3], v[vgprGlobalReadOffsetA+2], s[sgprSrdA:sgprSrdA+3], 0, offen offset:0 // G -> Reg 0_0_2_0
v_mfma_f32_32x32x4f16 a[96+0:127+0], v[vgprValuA_X0_I0+2+0+0:vgprValuA_X0_I0+2+0+0+1], v[vgprValuB_X0_I0+2+0+0:vgprValuB_X0_I0+2+0+0+1], a[96:127]
/*  mfmaIndex:3  */
/* localReadsVacancy: latencyLeft 13 */
_buffer_load_b128 v[vgprG2LA+12:vgprG2LA+12+3], v[vgprGlobalReadOffsetA+3], s[sgprSrdA:sgprSrdA+3], 0, offen offset:0 // G -> Reg 0_0_3_0
v_mfma_f32_32x32x4f16 a[64+0:95+0], v[vgprValuA_X0_I0+0+0+0:vgprValuA_X0_I0+0+0+0+1], v[vgprValuB_X0_I0+2+0+0:vgprValuB_X0_I0+2+0+0+1], a[64:95]
/* numPrefetchIter=0 */
/* dataAtIterA=-1 numReadsIterA=1 skipReadsIterA=1 readsPerIterA=8 */
/* dataAtIterB=-1 numReadsIterB=1 skipReadsIterB=1 readsPerIterB=2 */


/* iter 1 */

/*  grEndMfmaIndex:5, lwStartMfmaIndex:22, lwEndMfmaIndex:27  */
/*  numMfmaForLR:2, barrierMfmaIndex:29 */
/*  mfmaIndex:4  */
_ds_load_u16 v[vgprValuA_X0_I0+0], v[vgprLocalReadAddrA] offset:4096 // L -> Reg lro=2048 swapByteOffset=0 ti=256 vIdx=0 rIdx=0 oIdx=0 buffer=0 iui=0
_ds_load_u16_d16_hi v51, v[vgprLocalReadAddrA] offset:4608 // L -> Reg lro=2048 swapByteOffset=0 ti=256 vIdx=0 rIdx=1 oIdx=0 buffer=0 iui=0
_ds_load_u16 v[vgprValuA_X0_I0+1], v[vgprLocalReadAddrA] offset:5120 // L -> Reg lro=2048 swapByteOffset=0 ti=256 vIdx=0 rIdx=2 oIdx=0 buffer=0 iui=0
_ds_load_u16_d16_hi v52, v[vgprLocalReadAddrA] offset:5632 // L -> Reg lro=2048 swapByteOffset=0 ti=256 vIdx=0 rIdx=3 oIdx=0 buffer=0 iui=0
_ds_load_b64 v[vgprValuB_X0_I0+0:vgprValuB_X0_I0+0+1], v[vgprLocalReadAddrB] offset:16 // L -> Reg lro=8 swapByteOffset=0 ti=128 vIdx=0 rIdx=0 oIdx=0 buffer=0 iui=0
_ds_load_u16 v[vgprValuA_X0_I0+2], v[vgprLocalReadAddrA] offset:4098 // L -> Reg lro=2048 swapByteOffset=0 ti=256 vIdx=0 rIdx=0 oIdx=0 buffer=0 iui=0
_buffer_load_b128 v[vgprG2LB+0:vgprG2LB+0+3], v[vgprGlobalReadOffsetB+0], s[sgprSrdB:sgprSrdB+3], 0, offen offset:0 // G -> Reg 0_0_0_0
s_waitcnt lgkmcnt(6)                               // lgkmcnt=0 vmcnt=-1wait for prior local read local write old=0, new=6 newLW=0 newLR=6
/* pack scheduling: packAIdx:2, packBIdx:0 */
v_or_b32 v[vgprValuA_X1_I0+0], v[vgprValuA_X1_I0+0], v55 // pack two half Vgpr to one Vgpr
v_or_b32 v[vgprValuA_X1_I0+1], v[vgprValuA_X1_I0+1], v56 // pack two half Vgpr to one Vgpr
	;; [unrolled: 1-line block ×4, first 2 shown]
v_mfma_f32_32x32x4f16 a[0+0:31+0], v[vgprValuA_X1_I0+0+0+0:vgprValuA_X1_I0+0+0+0+1], v[vgprValuB_X1_I0+0+0+0:vgprValuB_X1_I0+0+0+0+1], a[0:31]
/*  mfmaIndex:5  */
_ds_load_u16_d16_hi v53, v[vgprLocalReadAddrA] offset:4610 // L -> Reg lro=2048 swapByteOffset=0 ti=256 vIdx=0 rIdx=1 oIdx=0 buffer=0 iui=0
_ds_load_u16 v[vgprValuA_X0_I0+3], v[vgprLocalReadAddrA] offset:5122 // L -> Reg lro=2048 swapByteOffset=0 ti=256 vIdx=0 rIdx=2 oIdx=0 buffer=0 iui=0
_ds_load_u16_d16_hi v54, v[vgprLocalReadAddrA] offset:5634 // L -> Reg lro=2048 swapByteOffset=0 ti=256 vIdx=0 rIdx=3 oIdx=0 buffer=0 iui=0
_ds_load_b64 v[vgprValuB_X0_I0+2:vgprValuB_X0_I0+2+1], v[vgprLocalReadAddrB] offset:80 // L -> Reg lro=8 swapByteOffset=0 ti=128 vIdx=0 rIdx=0 oIdx=0 buffer=0 iui=0
/* localReadsVacancy: latencyLeft 5 */
_buffer_load_b128 v[vgprG2LB+4:vgprG2LB+4+3], v[vgprGlobalReadOffsetB+1], s[sgprSrdB:sgprSrdB+3], 0, offen offset:0 // G -> Reg 0_0_1_0
v_mfma_f32_32x32x4f16 a[32+0:63+0], v[vgprValuA_X1_I0+2+0+0:vgprValuA_X1_I0+2+0+0+1], v[vgprValuB_X1_I0+0+0+0:vgprValuB_X1_I0+0+0+0+1], a[32:63]
/*  mfmaIndex:6  */
/* localReadsVacancy: latencyLeft 13 */

/* global read inc A loopL */
s_add_u32 s[sgprSrdA+0], s[sgprSrdA+0], s[sgprGlobalReadIncsA+0] // gra SRD += inc(lower)
s_addc_u32  s[sgprSrdA+1], s[sgprSrdA+1], 0        // gra SRD += inc(upper)
s_sub_u32 s[sgprShadowLimitA+0], s[sgprShadowLimitA+0], s[sgprGlobalReadIncsA+0] // limit -= inc)
s_subb_u32 s[sgprShadowLimitA+1], s[sgprShadowLimitA+1], 0 // limit -= inc)
s_cmp_eq_u32 s[sgprShadowLimitA+1], 0              // are we within 2^32?
s_cmov_b32 s[sgprSrdA+2], s[sgprShadowLimitA+0]    // Move shadow to real if we are within 2^32

/* global read inc B loopL */
s_add_u32 s[sgprSrdB+0], s[sgprSrdB+0], s[sgprGlobalReadIncsB+0] // gra SRD += inc(lower)
v_mfma_f32_32x32x4f16 a[96+0:127+0], v[vgprValuA_X1_I0+2+0+0:vgprValuA_X1_I0+2+0+0+1], v[vgprValuB_X1_I0+2+0+0:vgprValuB_X1_I0+2+0+0+1], a[96:127]
/*  mfmaIndex:7  */
/* localReadsVacancy: latencyLeft 13 */
s_addc_u32  s[sgprSrdB+1], s[sgprSrdB+1], 0        // gra SRD += inc(upper)
s_sub_u32 s[sgprShadowLimitB+0], s[sgprShadowLimitB+0], s[sgprGlobalReadIncsB+0] // limit -= inc)
s_subb_u32 s[sgprShadowLimitB+1], s[sgprShadowLimitB+1], 0 // limit -= inc)
s_cmp_eq_u32 s[sgprShadowLimitB+1], 0              // are we within 2^32?
s_cmov_b32 s[sgprSrdB+2], s[sgprShadowLimitB+0]    // Move shadow to real if we are within 2^32
v_mfma_f32_32x32x4f16 a[64+0:95+0], v[vgprValuA_X1_I0+0+0+0:vgprValuA_X1_I0+0+0+0+1], v[vgprValuB_X1_I0+2+0+0:vgprValuB_X1_I0+2+0+0+1], a[64:95]
/* numPrefetchIter=0 */
/* dataAtIterA=0 numReadsIterA=2 skipReadsIterA=1 readsPerIterA=8 */
/* dataAtIterB=0 numReadsIterB=2 skipReadsIterB=1 readsPerIterB=2 */


/* iter 2 */

/*  grEndMfmaIndex:5, lwStartMfmaIndex:22, lwEndMfmaIndex:27  */
/*  numMfmaForLR:2, barrierMfmaIndex:29 */
/*  mfmaIndex:8  */
_ds_load_u16 v[vgprValuA_X1_I0+0], v[vgprLocalReadAddrA] offset:6144 // L -> Reg lro=3072 swapByteOffset=0 ti=256 vIdx=0 rIdx=0 oIdx=0 buffer=1 iui=0
_ds_load_u16_d16_hi v55, v[vgprLocalReadAddrA] offset:6656 // L -> Reg lro=3072 swapByteOffset=0 ti=256 vIdx=0 rIdx=1 oIdx=0 buffer=1 iui=0
_ds_load_u16 v[vgprValuA_X1_I0+1], v[vgprLocalReadAddrA] offset:7168 // L -> Reg lro=3072 swapByteOffset=0 ti=256 vIdx=0 rIdx=2 oIdx=0 buffer=1 iui=0
_ds_load_u16_d16_hi v56, v[vgprLocalReadAddrA] offset:7680 // L -> Reg lro=3072 swapByteOffset=0 ti=256 vIdx=0 rIdx=3 oIdx=0 buffer=1 iui=0
_ds_load_b64 v[vgprValuB_X1_I0+0:vgprValuB_X1_I0+0+1], v[vgprLocalReadAddrB] offset:24 // L -> Reg lro=12 swapByteOffset=0 ti=128 vIdx=0 rIdx=0 oIdx=0 buffer=1 iui=0
_ds_load_u16 v[vgprValuA_X1_I0+2], v[vgprLocalReadAddrA] offset:6146 // L -> Reg lro=3072 swapByteOffset=0 ti=256 vIdx=0 rIdx=0 oIdx=0 buffer=1 iui=0
s_waitcnt lgkmcnt(6)                               // lgkmcnt=0 vmcnt=-1wait for prior local read local write old=0, new=6 newLW=0 newLR=6
/* pack scheduling: packAIdx:2, packBIdx:0 */
v_or_b32 v[vgprValuA_X0_I0+0], v[vgprValuA_X0_I0+0], v51 // pack two half Vgpr to one Vgpr
v_or_b32 v[vgprValuA_X0_I0+1], v[vgprValuA_X0_I0+1], v52 // pack two half Vgpr to one Vgpr
	;; [unrolled: 1-line block ×4, first 2 shown]
v_mfma_f32_32x32x4f16 a[0+0:31+0], v[vgprValuA_X0_I0+0+0+0:vgprValuA_X0_I0+0+0+0+1], v[vgprValuB_X0_I0+0+0+0:vgprValuB_X0_I0+0+0+0+1], a[0:31]
/*  mfmaIndex:9  */
_ds_load_u16_d16_hi v57, v[vgprLocalReadAddrA] offset:6658 // L -> Reg lro=3072 swapByteOffset=0 ti=256 vIdx=0 rIdx=1 oIdx=0 buffer=1 iui=0
_ds_load_u16 v[vgprValuA_X1_I0+3], v[vgprLocalReadAddrA] offset:7170 // L -> Reg lro=3072 swapByteOffset=0 ti=256 vIdx=0 rIdx=2 oIdx=0 buffer=1 iui=0
_ds_load_u16_d16_hi v58, v[vgprLocalReadAddrA] offset:7682 // L -> Reg lro=3072 swapByteOffset=0 ti=256 vIdx=0 rIdx=3 oIdx=0 buffer=1 iui=0
_ds_load_b64 v[vgprValuB_X1_I0+2:vgprValuB_X1_I0+2+1], v[vgprLocalReadAddrB] offset:88 // L -> Reg lro=12 swapByteOffset=0 ti=128 vIdx=0 rIdx=0 oIdx=0 buffer=1 iui=0
/* localReadsVacancy: latencyLeft 5 */
v_mfma_f32_32x32x4f16 a[32+0:63+0], v[vgprValuA_X0_I0+2+0+0:vgprValuA_X0_I0+2+0+0+1], v[vgprValuB_X0_I0+0+0+0:vgprValuB_X0_I0+0+0+0+1], a[32:63]
/*  mfmaIndex:10  */
/* localReadsVacancy: latencyLeft 13 */
v_mfma_f32_32x32x4f16 a[96+0:127+0], v[vgprValuA_X0_I0+2+0+0:vgprValuA_X0_I0+2+0+0+1], v[vgprValuB_X0_I0+2+0+0:vgprValuB_X0_I0+2+0+0+1], a[96:127]
/*  mfmaIndex:11  */
/* localReadsVacancy: latencyLeft 13 */
v_mfma_f32_32x32x4f16 a[64+0:95+0], v[vgprValuA_X0_I0+0+0+0:vgprValuA_X0_I0+0+0+0+1], v[vgprValuB_X0_I0+2+0+0:vgprValuB_X0_I0+2+0+0+1], a[64:95]
/* numPrefetchIter=0 */
/* dataAtIterA=1 numReadsIterA=3 skipReadsIterA=1 readsPerIterA=8 */
/* dataAtIterB=1 numReadsIterB=3 skipReadsIterB=1 readsPerIterB=2 */


/* iter 3 */

/*  grEndMfmaIndex:5, lwStartMfmaIndex:22, lwEndMfmaIndex:27  */
/*  numMfmaForLR:2, barrierMfmaIndex:29 */
/*  mfmaIndex:12  */
_ds_load_u16 v[vgprValuA_X0_I0+0], v[vgprLocalReadAddrA] offset:8192 // L -> Reg lro=4096 swapByteOffset=0 ti=256 vIdx=0 rIdx=0 oIdx=0 buffer=0 iui=0
_ds_load_u16_d16_hi v51, v[vgprLocalReadAddrA] offset:8704 // L -> Reg lro=4096 swapByteOffset=0 ti=256 vIdx=0 rIdx=1 oIdx=0 buffer=0 iui=0
_ds_load_u16 v[vgprValuA_X0_I0+1], v[vgprLocalReadAddrA] offset:9216 // L -> Reg lro=4096 swapByteOffset=0 ti=256 vIdx=0 rIdx=2 oIdx=0 buffer=0 iui=0
_ds_load_u16_d16_hi v52, v[vgprLocalReadAddrA] offset:9728 // L -> Reg lro=4096 swapByteOffset=0 ti=256 vIdx=0 rIdx=3 oIdx=0 buffer=0 iui=0
_ds_load_b64 v[vgprValuB_X0_I0+0:vgprValuB_X0_I0+0+1], v[vgprLocalReadAddrB] offset:32 // L -> Reg lro=16 swapByteOffset=0 ti=128 vIdx=0 rIdx=0 oIdx=0 buffer=0 iui=0
_ds_load_u16 v[vgprValuA_X0_I0+2], v[vgprLocalReadAddrA] offset:8194 // L -> Reg lro=4096 swapByteOffset=0 ti=256 vIdx=0 rIdx=0 oIdx=0 buffer=0 iui=0
s_waitcnt lgkmcnt(6)                               // lgkmcnt=0 vmcnt=-1wait for prior local read local write old=0, new=6 newLW=0 newLR=6
/* pack scheduling: packAIdx:2, packBIdx:0 */
v_or_b32 v[vgprValuA_X1_I0+0], v[vgprValuA_X1_I0+0], v55 // pack two half Vgpr to one Vgpr
v_or_b32 v[vgprValuA_X1_I0+1], v[vgprValuA_X1_I0+1], v56 // pack two half Vgpr to one Vgpr
	;; [unrolled: 1-line block ×4, first 2 shown]
v_mfma_f32_32x32x4f16 a[0+0:31+0], v[vgprValuA_X1_I0+0+0+0:vgprValuA_X1_I0+0+0+0+1], v[vgprValuB_X1_I0+0+0+0:vgprValuB_X1_I0+0+0+0+1], a[0:31]
/*  mfmaIndex:13  */
_ds_load_u16_d16_hi v53, v[vgprLocalReadAddrA] offset:8706 // L -> Reg lro=4096 swapByteOffset=0 ti=256 vIdx=0 rIdx=1 oIdx=0 buffer=0 iui=0
_ds_load_u16 v[vgprValuA_X0_I0+3], v[vgprLocalReadAddrA] offset:9218 // L -> Reg lro=4096 swapByteOffset=0 ti=256 vIdx=0 rIdx=2 oIdx=0 buffer=0 iui=0
_ds_load_u16_d16_hi v54, v[vgprLocalReadAddrA] offset:9730 // L -> Reg lro=4096 swapByteOffset=0 ti=256 vIdx=0 rIdx=3 oIdx=0 buffer=0 iui=0
_ds_load_b64 v[vgprValuB_X0_I0+2:vgprValuB_X0_I0+2+1], v[vgprLocalReadAddrB] offset:96 // L -> Reg lro=16 swapByteOffset=0 ti=128 vIdx=0 rIdx=0 oIdx=0 buffer=0 iui=0
/* localReadsVacancy: latencyLeft 5 */
v_mfma_f32_32x32x4f16 a[32+0:63+0], v[vgprValuA_X1_I0+2+0+0:vgprValuA_X1_I0+2+0+0+1], v[vgprValuB_X1_I0+0+0+0:vgprValuB_X1_I0+0+0+0+1], a[32:63]
/*  mfmaIndex:14  */
/* localReadsVacancy: latencyLeft 13 */
v_mfma_f32_32x32x4f16 a[96+0:127+0], v[vgprValuA_X1_I0+2+0+0:vgprValuA_X1_I0+2+0+0+1], v[vgprValuB_X1_I0+2+0+0:vgprValuB_X1_I0+2+0+0+1], a[96:127]
/*  mfmaIndex:15  */
/* localReadsVacancy: latencyLeft 13 */
v_mfma_f32_32x32x4f16 a[64+0:95+0], v[vgprValuA_X1_I0+0+0+0:vgprValuA_X1_I0+0+0+0+1], v[vgprValuB_X1_I0+2+0+0:vgprValuB_X1_I0+2+0+0+1], a[64:95]
/* numPrefetchIter=0 */
/* dataAtIterA=2 numReadsIterA=4 skipReadsIterA=1 readsPerIterA=8 */
/* dataAtIterB=2 numReadsIterB=4 skipReadsIterB=1 readsPerIterB=2 */


/* iter 4 */

/*  grEndMfmaIndex:5, lwStartMfmaIndex:22, lwEndMfmaIndex:27  */
/*  numMfmaForLR:2, barrierMfmaIndex:29 */
/*  mfmaIndex:16  */
_ds_load_u16 v[vgprValuA_X1_I0+0], v[vgprLocalReadAddrA] offset:10240 // L -> Reg lro=5120 swapByteOffset=0 ti=256 vIdx=0 rIdx=0 oIdx=0 buffer=1 iui=0
_ds_load_u16_d16_hi v55, v[vgprLocalReadAddrA] offset:10752 // L -> Reg lro=5120 swapByteOffset=0 ti=256 vIdx=0 rIdx=1 oIdx=0 buffer=1 iui=0
_ds_load_u16 v[vgprValuA_X1_I0+1], v[vgprLocalReadAddrA] offset:11264 // L -> Reg lro=5120 swapByteOffset=0 ti=256 vIdx=0 rIdx=2 oIdx=0 buffer=1 iui=0
_ds_load_u16_d16_hi v56, v[vgprLocalReadAddrA] offset:11776 // L -> Reg lro=5120 swapByteOffset=0 ti=256 vIdx=0 rIdx=3 oIdx=0 buffer=1 iui=0
_ds_load_b64 v[vgprValuB_X1_I0+0:vgprValuB_X1_I0+0+1], v[vgprLocalReadAddrB] offset:40 // L -> Reg lro=20 swapByteOffset=0 ti=128 vIdx=0 rIdx=0 oIdx=0 buffer=1 iui=0
_ds_load_u16 v[vgprValuA_X1_I0+2], v[vgprLocalReadAddrA] offset:10242 // L -> Reg lro=5120 swapByteOffset=0 ti=256 vIdx=0 rIdx=0 oIdx=0 buffer=1 iui=0
s_waitcnt lgkmcnt(6)                               // lgkmcnt=0 vmcnt=-1wait for prior local read local write old=0, new=6 newLW=0 newLR=6
/* pack scheduling: packAIdx:2, packBIdx:0 */
v_or_b32 v[vgprValuA_X0_I0+0], v[vgprValuA_X0_I0+0], v51 // pack two half Vgpr to one Vgpr
v_or_b32 v[vgprValuA_X0_I0+1], v[vgprValuA_X0_I0+1], v52 // pack two half Vgpr to one Vgpr
v_or_b32 v[vgprValuA_X0_I0+2], v[vgprValuA_X0_I0+2], v53 // pack two half Vgpr to one Vgpr
v_or_b32 v[vgprValuA_X0_I0+3], v[vgprValuA_X0_I0+3], v54 // pack two half Vgpr to one Vgpr
v_mfma_f32_32x32x4f16 a[0+0:31+0], v[vgprValuA_X0_I0+0+0+0:vgprValuA_X0_I0+0+0+0+1], v[vgprValuB_X0_I0+0+0+0:vgprValuB_X0_I0+0+0+0+1], a[0:31]
/*  mfmaIndex:17  */
_ds_load_u16_d16_hi v57, v[vgprLocalReadAddrA] offset:10754 // L -> Reg lro=5120 swapByteOffset=0 ti=256 vIdx=0 rIdx=1 oIdx=0 buffer=1 iui=0
_ds_load_u16 v[vgprValuA_X1_I0+3], v[vgprLocalReadAddrA] offset:11266 // L -> Reg lro=5120 swapByteOffset=0 ti=256 vIdx=0 rIdx=2 oIdx=0 buffer=1 iui=0
_ds_load_u16_d16_hi v58, v[vgprLocalReadAddrA] offset:11778 // L -> Reg lro=5120 swapByteOffset=0 ti=256 vIdx=0 rIdx=3 oIdx=0 buffer=1 iui=0
_ds_load_b64 v[vgprValuB_X1_I0+2:vgprValuB_X1_I0+2+1], v[vgprLocalReadAddrB] offset:104 // L -> Reg lro=20 swapByteOffset=0 ti=128 vIdx=0 rIdx=0 oIdx=0 buffer=1 iui=0
/* localReadsVacancy: latencyLeft 5 */
v_mfma_f32_32x32x4f16 a[32+0:63+0], v[vgprValuA_X0_I0+2+0+0:vgprValuA_X0_I0+2+0+0+1], v[vgprValuB_X0_I0+0+0+0:vgprValuB_X0_I0+0+0+0+1], a[32:63]
/*  mfmaIndex:18  */
/* localReadsVacancy: latencyLeft 13 */
v_mfma_f32_32x32x4f16 a[96+0:127+0], v[vgprValuA_X0_I0+2+0+0:vgprValuA_X0_I0+2+0+0+1], v[vgprValuB_X0_I0+2+0+0:vgprValuB_X0_I0+2+0+0+1], a[96:127]
/*  mfmaIndex:19  */
/* localReadsVacancy: latencyLeft 13 */
v_mfma_f32_32x32x4f16 a[64+0:95+0], v[vgprValuA_X0_I0+0+0+0:vgprValuA_X0_I0+0+0+0+1], v[vgprValuB_X0_I0+2+0+0:vgprValuB_X0_I0+2+0+0+1], a[64:95]
/* numPrefetchIter=0 */
/* dataAtIterA=3 numReadsIterA=5 skipReadsIterA=1 readsPerIterA=8 */
/* dataAtIterB=3 numReadsIterB=5 skipReadsIterB=1 readsPerIterB=2 */


/* iter 5 */

/*  grEndMfmaIndex:5, lwStartMfmaIndex:22, lwEndMfmaIndex:27  */
/*  numMfmaForLR:2, barrierMfmaIndex:29 */
/*  mfmaIndex:20  */
_ds_load_u16 v[vgprValuA_X0_I0+0], v[vgprLocalReadAddrA] offset:12288 // L -> Reg lro=6144 swapByteOffset=0 ti=256 vIdx=0 rIdx=0 oIdx=0 buffer=0 iui=0
_ds_load_u16_d16_hi v51, v[vgprLocalReadAddrA] offset:12800 // L -> Reg lro=6144 swapByteOffset=0 ti=256 vIdx=0 rIdx=1 oIdx=0 buffer=0 iui=0
_ds_load_u16 v[vgprValuA_X0_I0+1], v[vgprLocalReadAddrA] offset:13312 // L -> Reg lro=6144 swapByteOffset=0 ti=256 vIdx=0 rIdx=2 oIdx=0 buffer=0 iui=0
_ds_load_u16_d16_hi v52, v[vgprLocalReadAddrA] offset:13824 // L -> Reg lro=6144 swapByteOffset=0 ti=256 vIdx=0 rIdx=3 oIdx=0 buffer=0 iui=0
_ds_load_b64 v[vgprValuB_X0_I0+0:vgprValuB_X0_I0+0+1], v[vgprLocalReadAddrB] offset:48 // L -> Reg lro=24 swapByteOffset=0 ti=128 vIdx=0 rIdx=0 oIdx=0 buffer=0 iui=0
_ds_load_u16 v[vgprValuA_X0_I0+2], v[vgprLocalReadAddrA] offset:12290 // L -> Reg lro=6144 swapByteOffset=0 ti=256 vIdx=0 rIdx=0 oIdx=0 buffer=0 iui=0
s_waitcnt lgkmcnt(6)                               // lgkmcnt=0 vmcnt=-1wait for prior local read local write old=0, new=6 newLW=0 newLR=6
/* pack scheduling: packAIdx:2, packBIdx:0 */
v_or_b32 v[vgprValuA_X1_I0+0], v[vgprValuA_X1_I0+0], v55 // pack two half Vgpr to one Vgpr
v_or_b32 v[vgprValuA_X1_I0+1], v[vgprValuA_X1_I0+1], v56 // pack two half Vgpr to one Vgpr
	;; [unrolled: 1-line block ×4, first 2 shown]
v_mfma_f32_32x32x4f16 a[0+0:31+0], v[vgprValuA_X1_I0+0+0+0:vgprValuA_X1_I0+0+0+0+1], v[vgprValuB_X1_I0+0+0+0:vgprValuB_X1_I0+0+0+0+1], a[0:31]
/*  mfmaIndex:21  */
_ds_load_u16_d16_hi v53, v[vgprLocalReadAddrA] offset:12802 // L -> Reg lro=6144 swapByteOffset=0 ti=256 vIdx=0 rIdx=1 oIdx=0 buffer=0 iui=0
_ds_load_u16 v[vgprValuA_X0_I0+3], v[vgprLocalReadAddrA] offset:13314 // L -> Reg lro=6144 swapByteOffset=0 ti=256 vIdx=0 rIdx=2 oIdx=0 buffer=0 iui=0
_ds_load_u16_d16_hi v54, v[vgprLocalReadAddrA] offset:13826 // L -> Reg lro=6144 swapByteOffset=0 ti=256 vIdx=0 rIdx=3 oIdx=0 buffer=0 iui=0
_ds_load_b64 v[vgprValuB_X0_I0+2:vgprValuB_X0_I0+2+1], v[vgprLocalReadAddrB] offset:112 // L -> Reg lro=24 swapByteOffset=0 ti=128 vIdx=0 rIdx=0 oIdx=0 buffer=0 iui=0
/* localReadsVacancy: latencyLeft 5 */
v_mfma_f32_32x32x4f16 a[32+0:63+0], v[vgprValuA_X1_I0+2+0+0:vgprValuA_X1_I0+2+0+0+1], v[vgprValuB_X1_I0+0+0+0:vgprValuB_X1_I0+0+0+0+1], a[32:63]
/*  mfmaIndex:22  */
/* localReadsVacancy: latencyLeft 3 */
/* sched write - iter 5 writesPerItem=1 */
s_waitcnt vmcnt(0)                                 // lgkmcnt=-1 vmcnt=0wait for global read before writing to local
_ds_store_b128 v[vgprLocalWriteAddrA], v[vgprG2LA+0:vgprG2LA+0+3] offset:32768 // lwoA_0_0_0_0 = (0*LSCA) + (0*LSPA)(*MT0I+PAD) = 32768
v_mfma_f32_32x32x4f16 a[96+0:127+0], v[vgprValuA_X1_I0+2+0+0:vgprValuA_X1_I0+2+0+0+1], v[vgprValuB_X1_I0+2+0+0:vgprValuB_X1_I0+2+0+0+1], a[96:127]
/*  mfmaIndex:23  */
/* localReadsVacancy: latencyLeft 3 */
/* sched write - iter 5 writesPerItem=1 */
s_waitcnt vmcnt(0)                                 // lgkmcnt=-1 vmcnt=0wait for global read before writing to local
_ds_store_b128 v[vgprLocalWriteAddrA], v[vgprG2LA+4:vgprG2LA+4+3] offset:33792 // lwoA_0_0_1_0 = (0*LSCA) + (1*LSPA)(*MT0I+PAD) = 33792
v_mfma_f32_32x32x4f16 a[64+0:95+0], v[vgprValuA_X1_I0+0+0+0:vgprValuA_X1_I0+0+0+0+1], v[vgprValuB_X1_I0+2+0+0:vgprValuB_X1_I0+2+0+0+1], a[64:95]
/* numPrefetchIter=0 */
/* dataAtIterA=4 numReadsIterA=6 skipReadsIterA=1 readsPerIterA=8 */
/* dataAtIterB=4 numReadsIterB=6 skipReadsIterB=1 readsPerIterB=2 */


/* iter 6 (reset local read pointers iteration)  (swap and reset local write pointers iteration)  (swap local read pointers iteration)  */

/*  grEndMfmaIndex:5, lwStartMfmaIndex:22, lwEndMfmaIndex:27  */
/*  numMfmaForLR:2, barrierMfmaIndex:29 */
/*  mfmaIndex:24  */
_ds_load_u16 v[vgprValuA_X1_I0+0], v[vgprLocalReadAddrA] offset:14336 // L -> Reg lro=7168 swapByteOffset=0 ti=256 vIdx=0 rIdx=0 oIdx=0 buffer=1 iui=0
_ds_load_u16_d16_hi v55, v[vgprLocalReadAddrA] offset:14848 // L -> Reg lro=7168 swapByteOffset=0 ti=256 vIdx=0 rIdx=1 oIdx=0 buffer=1 iui=0
_ds_load_u16 v[vgprValuA_X1_I0+1], v[vgprLocalReadAddrA] offset:15360 // L -> Reg lro=7168 swapByteOffset=0 ti=256 vIdx=0 rIdx=2 oIdx=0 buffer=1 iui=0
/* sched write - iter 6 writesPerItem=1 */
s_waitcnt vmcnt(0)                                 // lgkmcnt=-1 vmcnt=0wait for global read before writing to local
_ds_store_b128 v[vgprLocalWriteAddrA], v[vgprG2LA+8:vgprG2LA+8+3] offset:34816 // lwoA_0_0_2_0 = (0*LSCA) + (2*LSPA)(*MT0I+PAD) = 34816
s_waitcnt lgkmcnt(6)                               // lgkmcnt=0 vmcnt=-1wait for prior local read local write old=0, new=6 newLW=3 newLR=3
/* pack scheduling: packAIdx:2, packBIdx:0 */
v_or_b32 v[vgprValuA_X0_I0+0], v[vgprValuA_X0_I0+0], v51 // pack two half Vgpr to one Vgpr
v_or_b32 v[vgprValuA_X0_I0+1], v[vgprValuA_X0_I0+1], v52 // pack two half Vgpr to one Vgpr
	;; [unrolled: 1-line block ×4, first 2 shown]
v_mfma_f32_32x32x4f16 a[0+0:31+0], v[vgprValuA_X0_I0+0+0+0:vgprValuA_X0_I0+0+0+0+1], v[vgprValuB_X0_I0+0+0+0:vgprValuB_X0_I0+0+0+0+1], a[0:31]
/*  mfmaIndex:25  */
_ds_load_u16_d16_hi v56, v[vgprLocalReadAddrA] offset:15872 // L -> Reg lro=7168 swapByteOffset=0 ti=256 vIdx=0 rIdx=3 oIdx=0 buffer=1 iui=0
_ds_load_b64 v[vgprValuB_X1_I0+0:vgprValuB_X1_I0+0+1], v[vgprLocalReadAddrB] offset:56 // L -> Reg lro=28 swapByteOffset=0 ti=128 vIdx=0 rIdx=0 oIdx=0 buffer=1 iui=0
_ds_load_u16 v[vgprValuA_X1_I0+2], v[vgprLocalReadAddrA] offset:14338 // L -> Reg lro=7168 swapByteOffset=0 ti=256 vIdx=0 rIdx=0 oIdx=0 buffer=1 iui=0
/* sched write - iter 6 writesPerItem=1 */
s_waitcnt vmcnt(0)                                 // lgkmcnt=-1 vmcnt=0wait for global read before writing to local
_ds_store_b128 v[vgprLocalWriteAddrA], v[vgprG2LA+12:vgprG2LA+12+3] offset:35840 // lwoA_0_0_3_0 = (0*LSCA) + (3*LSPA)(*MT0I+PAD) = 35840
v_mfma_f32_32x32x4f16 a[32+0:63+0], v[vgprValuA_X0_I0+2+0+0:vgprValuA_X0_I0+2+0+0+1], v[vgprValuB_X0_I0+0+0+0:vgprValuB_X0_I0+0+0+0+1], a[32:63]
/*  mfmaIndex:26  */
_ds_load_u16_d16_hi v57, v[vgprLocalReadAddrA] offset:14850 // L -> Reg lro=7168 swapByteOffset=0 ti=256 vIdx=0 rIdx=1 oIdx=0 buffer=1 iui=0
_ds_load_u16 v[vgprValuA_X1_I0+3], v[vgprLocalReadAddrA] offset:15362 // L -> Reg lro=7168 swapByteOffset=0 ti=256 vIdx=0 rIdx=2 oIdx=0 buffer=1 iui=0
/* sched write - iter 6 writesPerItem=1 */
s_waitcnt vmcnt(0)                                 // lgkmcnt=-1 vmcnt=0wait for global read before writing to local
_ds_store_b128 v[vgprLocalWriteAddrB], v[vgprG2LB+0:vgprG2LB+0+3] offset:32768 // lwoB_0_0_0_0 = (0*LSCB)*(MT1J+PAD) + (0*LSPB) = 32768
v_mfma_f32_32x32x4f16 a[96+0:127+0], v[vgprValuA_X0_I0+2+0+0:vgprValuA_X0_I0+2+0+0+1], v[vgprValuB_X0_I0+2+0+0:vgprValuB_X0_I0+2+0+0+1], a[96:127]
/*  mfmaIndex:27  */
_ds_load_u16_d16_hi v58, v[vgprLocalReadAddrA] offset:15874 // L -> Reg lro=7168 swapByteOffset=0 ti=256 vIdx=0 rIdx=3 oIdx=0 buffer=1 iui=0
_ds_load_b64 v[vgprValuB_X1_I0+2:vgprValuB_X1_I0+2+1], v[vgprLocalReadAddrB] offset:120 // L -> Reg lro=28 swapByteOffset=0 ti=128 vIdx=0 rIdx=0 oIdx=0 buffer=1 iui=0
/* sched write - iter 6 writesPerItem=1 */
s_waitcnt vmcnt(0)                                 // lgkmcnt=-1 vmcnt=0wait for global read before writing to local
_ds_store_b128 v[vgprLocalWriteAddrB], v[vgprG2LB+4:vgprG2LB+4+3] offset:33920 // lwoB_0_0_1_0 = (0*LSCB)*(MT1J+PAD) + (1*LSPB) = 33920

/* local write swap offsets a */

/* (EPS=1) local write swap internal offset -> 0 */

/* local write swap offsets b */

/* (EPS=1) local write swap internal offset -> 0 */

/* local read swap offsets a */

/* local read swap internal offset -> 32768 */

/* local read swap offsets b */

/* local read swap internal offset -> 32768 */

/* local read init pointers a */

/* localReadInitPointers */

/* local read init pointers b */

/* localReadInitPointers */
v_mfma_f32_32x32x4f16 a[64+0:95+0], v[vgprValuA_X0_I0+0+0+0:vgprValuA_X0_I0+0+0+0+1], v[vgprValuB_X0_I0+2+0+0:vgprValuB_X0_I0+2+0+0+1], a[64:95]
/* numPrefetchIter=0 */
/* dataAtIterA=5 numReadsIterA=7 skipReadsIterA=1 readsPerIterA=8 */
/* dataAtIterB=5 numReadsIterB=7 skipReadsIterB=1 readsPerIterB=2 */


/* iter 7 */

/*  grEndMfmaIndex:5, lwStartMfmaIndex:22, lwEndMfmaIndex:27  */
/*  numMfmaForLR:2, barrierMfmaIndex:29 */
/*  mfmaIndex:28  */
s_waitcnt lgkmcnt(1)                               // lgkmcnt=0 vmcnt=-1wait for prior local read local write old=0, new=1 newLW=1 newLR=0
/* pack scheduling: packAIdx:2, packBIdx:0 */
v_or_b32 v[vgprValuA_X1_I0+0], v[vgprValuA_X1_I0+0], v55 // pack two half Vgpr to one Vgpr
v_or_b32 v[vgprValuA_X1_I0+1], v[vgprValuA_X1_I0+1], v56 // pack two half Vgpr to one Vgpr
	;; [unrolled: 1-line block ×4, first 2 shown]
v_mfma_f32_32x32x4f16 a[0+0:31+0], v[vgprValuA_X1_I0+0+0+0:vgprValuA_X1_I0+0+0+0+1], v[vgprValuB_X1_I0+0+0+0:vgprValuB_X1_I0+0+0+0+1], a[0:31]
/*  mfmaIndex:29  */
s_waitcnt lgkmcnt(0)                               // lgkmcnt=0 vmcnt=-13wait for local write
s_waitcnt lgkmcnt(0) & vmcnt(0)                    // force waitcnt0
s_barrier //
v_mfma_f32_32x32x4f16 a[32+0:63+0], v[vgprValuA_X1_I0+2+0+0:vgprValuA_X1_I0+2+0+0+1], v[vgprValuB_X1_I0+0+0+0:vgprValuB_X1_I0+0+0+0+1], a[32:63]
/*  mfmaIndex:30  */
_ds_load_u16 v[vgprValuA_X0_I0+0], v[vgprLocalReadAddrA] offset:32768 // L -> Reg lro=0 swapByteOffset=32768 ti=256 vIdx=0 rIdx=0 oIdx=0 buffer=0 iui=0
_ds_load_u16_d16_hi v51, v[vgprLocalReadAddrA] offset:33280 // L -> Reg lro=0 swapByteOffset=32768 ti=256 vIdx=0 rIdx=1 oIdx=0 buffer=0 iui=0
_ds_load_u16 v[vgprValuA_X0_I0+1], v[vgprLocalReadAddrA] offset:33792 // L -> Reg lro=0 swapByteOffset=32768 ti=256 vIdx=0 rIdx=2 oIdx=0 buffer=0 iui=0
_ds_load_u16_d16_hi v52, v[vgprLocalReadAddrA] offset:34304 // L -> Reg lro=0 swapByteOffset=32768 ti=256 vIdx=0 rIdx=3 oIdx=0 buffer=0 iui=0
_ds_load_b64 v[vgprValuB_X0_I0+0:vgprValuB_X0_I0+0+1], v[vgprLocalReadAddrB] offset:32768 // L -> Reg lro=0 swapByteOffset=32768 ti=128 vIdx=0 rIdx=0 oIdx=0 buffer=0 iui=0
_ds_load_u16 v[vgprValuA_X0_I0+2], v[vgprLocalReadAddrA] offset:32770 // L -> Reg lro=0 swapByteOffset=32768 ti=256 vIdx=0 rIdx=0 oIdx=0 buffer=0 iui=0
v_mfma_f32_32x32x4f16 a[96+0:127+0], v[vgprValuA_X1_I0+2+0+0:vgprValuA_X1_I0+2+0+0+1], v[vgprValuB_X1_I0+2+0+0:vgprValuB_X1_I0+2+0+0+1], a[96:127]
/*  mfmaIndex:31  */
_ds_load_u16_d16_hi v53, v[vgprLocalReadAddrA] offset:33282 // L -> Reg lro=0 swapByteOffset=32768 ti=256 vIdx=0 rIdx=1 oIdx=0 buffer=0 iui=0
_ds_load_u16 v[vgprValuA_X0_I0+3], v[vgprLocalReadAddrA] offset:33794 // L -> Reg lro=0 swapByteOffset=32768 ti=256 vIdx=0 rIdx=2 oIdx=0 buffer=0 iui=0
_ds_load_u16_d16_hi v54, v[vgprLocalReadAddrA] offset:34306 // L -> Reg lro=0 swapByteOffset=32768 ti=256 vIdx=0 rIdx=3 oIdx=0 buffer=0 iui=0
_ds_load_b64 v[vgprValuB_X0_I0+2:vgprValuB_X0_I0+2+1], v[vgprLocalReadAddrB] offset:32832 // L -> Reg lro=0 swapByteOffset=32768 ti=128 vIdx=0 rIdx=0 oIdx=0 buffer=0 iui=0
v_mfma_f32_32x32x4f16 a[64+0:95+0], v[vgprValuA_X1_I0+0+0+0:vgprValuA_X1_I0+0+0+0+1], v[vgprValuB_X1_I0+2+0+0:vgprValuB_X1_I0+2+0+0+1], a[64:95]
/* numPrefetchIter=1 */
/* dataAtIterA=6 numReadsIterA=7 skipReadsIterA=1 readsPerIterA=8 */
/* dataAtIterB=6 numReadsIterB=7 skipReadsIterB=1 readsPerIterB=2 */


/******************************************/
/* Unrolled Loop - End 1/2                */
/******************************************/


/* closeLoop loopL finalLoop=0 tailLoop=0 */
s_sub_u32 s[sgprLoopCounterL], s[sgprLoopCounterL], 1 // dec counterL
s_cmp_eq_i32 s[sgprLoopCounterL], 0x1              // counterL==1
s_cbranch_scc1 LoopEndL_oddexit_3                  // exit LoopL


/******************************************/
/* Unrolled Loop 2/2 - Begin              */
/******************************************/

label_0014: // LoopCopy2 


/* Begin Each Unroll: Check VGPR.checkin for INT8 LW */


	;; [unrolled: 1-line block ×3, first 2 shown]
/* iter 0 */

/*  grEndMfmaIndex:5, lwStartMfmaIndex:22, lwEndMfmaIndex:27  */
/*  numMfmaForLR:2, barrierMfmaIndex:29 */
/*  mfmaIndex:0  */
_buffer_load_b128 v[vgprG2LA+0:vgprG2LA+0+3], v[vgprGlobalReadOffsetA+0], s[sgprSrdA:sgprSrdA+3], 0, offen offset:0 // G -> Reg 0_0_0_0
s_waitcnt lgkmcnt(0)                               // lgkmcnt=0 vmcnt=-1wait for prior local read local write old=0, new=0 newLW=0 newLR=0
/* pack scheduling: packAIdx:2, packBIdx:0 */
v_or_b32 v[vgprValuA_X0_I0+0], v[vgprValuA_X0_I0+0], v51 // pack two half Vgpr to one Vgpr
v_or_b32 v[vgprValuA_X0_I0+1], v[vgprValuA_X0_I0+1], v52 // pack two half Vgpr to one Vgpr
v_or_b32 v[vgprValuA_X0_I0+2], v[vgprValuA_X0_I0+2], v53 // pack two half Vgpr to one Vgpr
v_or_b32 v[vgprValuA_X0_I0+3], v[vgprValuA_X0_I0+3], v54 // pack two half Vgpr to one Vgpr
v_mfma_f32_32x32x4f16 a[0+0:31+0], v[vgprValuA_X0_I0+0+0+0:vgprValuA_X0_I0+0+0+0+1], v[vgprValuB_X0_I0+0+0+0:vgprValuB_X0_I0+0+0+0+1], a[0:31]
/*  mfmaIndex:1  */
_ds_load_u16 v[vgprValuA_X1_I0+0], v[vgprLocalReadAddrA] offset:34816 // L -> Reg lro=1024 swapByteOffset=32768 ti=256 vIdx=0 rIdx=0 oIdx=0 buffer=1 iui=0
_ds_load_u16_d16_hi v55, v[vgprLocalReadAddrA] offset:35328 // L -> Reg lro=1024 swapByteOffset=32768 ti=256 vIdx=0 rIdx=1 oIdx=0 buffer=1 iui=0
_ds_load_u16 v[vgprValuA_X1_I0+1], v[vgprLocalReadAddrA] offset:35840 // L -> Reg lro=1024 swapByteOffset=32768 ti=256 vIdx=0 rIdx=2 oIdx=0 buffer=1 iui=0
_ds_load_u16_d16_hi v56, v[vgprLocalReadAddrA] offset:36352 // L -> Reg lro=1024 swapByteOffset=32768 ti=256 vIdx=0 rIdx=3 oIdx=0 buffer=1 iui=0
_ds_load_b64 v[vgprValuB_X1_I0+0:vgprValuB_X1_I0+0+1], v[vgprLocalReadAddrB] offset:32776 // L -> Reg lro=4 swapByteOffset=32768 ti=128 vIdx=0 rIdx=0 oIdx=0 buffer=1 iui=0
_ds_load_u16 v[vgprValuA_X1_I0+2], v[vgprLocalReadAddrA] offset:34818 // L -> Reg lro=1024 swapByteOffset=32768 ti=256 vIdx=0 rIdx=0 oIdx=0 buffer=1 iui=0
_buffer_load_b128 v[vgprG2LA+4:vgprG2LA+4+3], v[vgprGlobalReadOffsetA+1], s[sgprSrdA:sgprSrdA+3], 0, offen offset:0 // G -> Reg 0_0_1_0
v_mfma_f32_32x32x4f16 a[32+0:63+0], v[vgprValuA_X0_I0+2+0+0:vgprValuA_X0_I0+2+0+0+1], v[vgprValuB_X0_I0+0+0+0:vgprValuB_X0_I0+0+0+0+1], a[32:63]
/*  mfmaIndex:2  */
_ds_load_u16_d16_hi v57, v[vgprLocalReadAddrA] offset:35330 // L -> Reg lro=1024 swapByteOffset=32768 ti=256 vIdx=0 rIdx=1 oIdx=0 buffer=1 iui=0
_ds_load_u16 v[vgprValuA_X1_I0+3], v[vgprLocalReadAddrA] offset:35842 // L -> Reg lro=1024 swapByteOffset=32768 ti=256 vIdx=0 rIdx=2 oIdx=0 buffer=1 iui=0
_ds_load_u16_d16_hi v58, v[vgprLocalReadAddrA] offset:36354 // L -> Reg lro=1024 swapByteOffset=32768 ti=256 vIdx=0 rIdx=3 oIdx=0 buffer=1 iui=0
_ds_load_b64 v[vgprValuB_X1_I0+2:vgprValuB_X1_I0+2+1], v[vgprLocalReadAddrB] offset:32840 // L -> Reg lro=4 swapByteOffset=32768 ti=128 vIdx=0 rIdx=0 oIdx=0 buffer=1 iui=0
/* localReadsVacancy: latencyLeft 5 */
_buffer_load_b128 v[vgprG2LA+8:vgprG2LA+8+3], v[vgprGlobalReadOffsetA+2], s[sgprSrdA:sgprSrdA+3], 0, offen offset:0 // G -> Reg 0_0_2_0
v_mfma_f32_32x32x4f16 a[96+0:127+0], v[vgprValuA_X0_I0+2+0+0:vgprValuA_X0_I0+2+0+0+1], v[vgprValuB_X0_I0+2+0+0:vgprValuB_X0_I0+2+0+0+1], a[96:127]
/*  mfmaIndex:3  */
/* localReadsVacancy: latencyLeft 13 */
_buffer_load_b128 v[vgprG2LA+12:vgprG2LA+12+3], v[vgprGlobalReadOffsetA+3], s[sgprSrdA:sgprSrdA+3], 0, offen offset:0 // G -> Reg 0_0_3_0
v_mfma_f32_32x32x4f16 a[64+0:95+0], v[vgprValuA_X0_I0+0+0+0:vgprValuA_X0_I0+0+0+0+1], v[vgprValuB_X0_I0+2+0+0:vgprValuB_X0_I0+2+0+0+1], a[64:95]
/* numPrefetchIter=0 */
/* dataAtIterA=-1 numReadsIterA=1 skipReadsIterA=1 readsPerIterA=8 */
/* dataAtIterB=-1 numReadsIterB=1 skipReadsIterB=1 readsPerIterB=2 */


/* iter 1 */

/*  grEndMfmaIndex:5, lwStartMfmaIndex:22, lwEndMfmaIndex:27  */
/*  numMfmaForLR:2, barrierMfmaIndex:29 */
/*  mfmaIndex:4  */
_ds_load_u16 v[vgprValuA_X0_I0+0], v[vgprLocalReadAddrA] offset:36864 // L -> Reg lro=2048 swapByteOffset=32768 ti=256 vIdx=0 rIdx=0 oIdx=0 buffer=0 iui=0
_ds_load_u16_d16_hi v51, v[vgprLocalReadAddrA] offset:37376 // L -> Reg lro=2048 swapByteOffset=32768 ti=256 vIdx=0 rIdx=1 oIdx=0 buffer=0 iui=0
_ds_load_u16 v[vgprValuA_X0_I0+1], v[vgprLocalReadAddrA] offset:37888 // L -> Reg lro=2048 swapByteOffset=32768 ti=256 vIdx=0 rIdx=2 oIdx=0 buffer=0 iui=0
_ds_load_u16_d16_hi v52, v[vgprLocalReadAddrA] offset:38400 // L -> Reg lro=2048 swapByteOffset=32768 ti=256 vIdx=0 rIdx=3 oIdx=0 buffer=0 iui=0
_ds_load_b64 v[vgprValuB_X0_I0+0:vgprValuB_X0_I0+0+1], v[vgprLocalReadAddrB] offset:32784 // L -> Reg lro=8 swapByteOffset=32768 ti=128 vIdx=0 rIdx=0 oIdx=0 buffer=0 iui=0
_ds_load_u16 v[vgprValuA_X0_I0+2], v[vgprLocalReadAddrA] offset:36866 // L -> Reg lro=2048 swapByteOffset=32768 ti=256 vIdx=0 rIdx=0 oIdx=0 buffer=0 iui=0
_buffer_load_b128 v[vgprG2LB+0:vgprG2LB+0+3], v[vgprGlobalReadOffsetB+0], s[sgprSrdB:sgprSrdB+3], 0, offen offset:0 // G -> Reg 0_0_0_0
s_waitcnt lgkmcnt(6)                               // lgkmcnt=0 vmcnt=-1wait for prior local read local write old=0, new=6 newLW=0 newLR=6
/* pack scheduling: packAIdx:2, packBIdx:0 */
v_or_b32 v[vgprValuA_X1_I0+0], v[vgprValuA_X1_I0+0], v55 // pack two half Vgpr to one Vgpr
v_or_b32 v[vgprValuA_X1_I0+1], v[vgprValuA_X1_I0+1], v56 // pack two half Vgpr to one Vgpr
	;; [unrolled: 1-line block ×4, first 2 shown]
v_mfma_f32_32x32x4f16 a[0+0:31+0], v[vgprValuA_X1_I0+0+0+0:vgprValuA_X1_I0+0+0+0+1], v[vgprValuB_X1_I0+0+0+0:vgprValuB_X1_I0+0+0+0+1], a[0:31]
/*  mfmaIndex:5  */
_ds_load_u16_d16_hi v53, v[vgprLocalReadAddrA] offset:37378 // L -> Reg lro=2048 swapByteOffset=32768 ti=256 vIdx=0 rIdx=1 oIdx=0 buffer=0 iui=0
_ds_load_u16 v[vgprValuA_X0_I0+3], v[vgprLocalReadAddrA] offset:37890 // L -> Reg lro=2048 swapByteOffset=32768 ti=256 vIdx=0 rIdx=2 oIdx=0 buffer=0 iui=0
_ds_load_u16_d16_hi v54, v[vgprLocalReadAddrA] offset:38402 // L -> Reg lro=2048 swapByteOffset=32768 ti=256 vIdx=0 rIdx=3 oIdx=0 buffer=0 iui=0
_ds_load_b64 v[vgprValuB_X0_I0+2:vgprValuB_X0_I0+2+1], v[vgprLocalReadAddrB] offset:32848 // L -> Reg lro=8 swapByteOffset=32768 ti=128 vIdx=0 rIdx=0 oIdx=0 buffer=0 iui=0
/* localReadsVacancy: latencyLeft 5 */
_buffer_load_b128 v[vgprG2LB+4:vgprG2LB+4+3], v[vgprGlobalReadOffsetB+1], s[sgprSrdB:sgprSrdB+3], 0, offen offset:0 // G -> Reg 0_0_1_0
v_mfma_f32_32x32x4f16 a[32+0:63+0], v[vgprValuA_X1_I0+2+0+0:vgprValuA_X1_I0+2+0+0+1], v[vgprValuB_X1_I0+0+0+0:vgprValuB_X1_I0+0+0+0+1], a[32:63]
/*  mfmaIndex:6  */
/* localReadsVacancy: latencyLeft 13 */

/* global read inc A loopL */
s_add_u32 s[sgprSrdA+0], s[sgprSrdA+0], s[sgprGlobalReadIncsA+0] // gra SRD += inc(lower)
s_addc_u32  s[sgprSrdA+1], s[sgprSrdA+1], 0        // gra SRD += inc(upper)
s_sub_u32 s[sgprShadowLimitA+0], s[sgprShadowLimitA+0], s[sgprGlobalReadIncsA+0] // limit -= inc)
s_subb_u32 s[sgprShadowLimitA+1], s[sgprShadowLimitA+1], 0 // limit -= inc)
s_cmp_eq_u32 s[sgprShadowLimitA+1], 0              // are we within 2^32?
s_cmov_b32 s[sgprSrdA+2], s[sgprShadowLimitA+0]    // Move shadow to real if we are within 2^32

/* global read inc B loopL */
s_add_u32 s[sgprSrdB+0], s[sgprSrdB+0], s[sgprGlobalReadIncsB+0] // gra SRD += inc(lower)
v_mfma_f32_32x32x4f16 a[96+0:127+0], v[vgprValuA_X1_I0+2+0+0:vgprValuA_X1_I0+2+0+0+1], v[vgprValuB_X1_I0+2+0+0:vgprValuB_X1_I0+2+0+0+1], a[96:127]
/*  mfmaIndex:7  */
/* localReadsVacancy: latencyLeft 13 */
s_addc_u32  s[sgprSrdB+1], s[sgprSrdB+1], 0        // gra SRD += inc(upper)
s_sub_u32 s[sgprShadowLimitB+0], s[sgprShadowLimitB+0], s[sgprGlobalReadIncsB+0] // limit -= inc)
s_subb_u32 s[sgprShadowLimitB+1], s[sgprShadowLimitB+1], 0 // limit -= inc)
s_cmp_eq_u32 s[sgprShadowLimitB+1], 0              // are we within 2^32?
s_cmov_b32 s[sgprSrdB+2], s[sgprShadowLimitB+0]    // Move shadow to real if we are within 2^32
v_mfma_f32_32x32x4f16 a[64+0:95+0], v[vgprValuA_X1_I0+0+0+0:vgprValuA_X1_I0+0+0+0+1], v[vgprValuB_X1_I0+2+0+0:vgprValuB_X1_I0+2+0+0+1], a[64:95]
/* numPrefetchIter=0 */
/* dataAtIterA=0 numReadsIterA=2 skipReadsIterA=1 readsPerIterA=8 */
/* dataAtIterB=0 numReadsIterB=2 skipReadsIterB=1 readsPerIterB=2 */


/* iter 2 */

/*  grEndMfmaIndex:5, lwStartMfmaIndex:22, lwEndMfmaIndex:27  */
/*  numMfmaForLR:2, barrierMfmaIndex:29 */
/*  mfmaIndex:8  */
_ds_load_u16 v[vgprValuA_X1_I0+0], v[vgprLocalReadAddrA] offset:38912 // L -> Reg lro=3072 swapByteOffset=32768 ti=256 vIdx=0 rIdx=0 oIdx=0 buffer=1 iui=0
_ds_load_u16_d16_hi v55, v[vgprLocalReadAddrA] offset:39424 // L -> Reg lro=3072 swapByteOffset=32768 ti=256 vIdx=0 rIdx=1 oIdx=0 buffer=1 iui=0
_ds_load_u16 v[vgprValuA_X1_I0+1], v[vgprLocalReadAddrA] offset:39936 // L -> Reg lro=3072 swapByteOffset=32768 ti=256 vIdx=0 rIdx=2 oIdx=0 buffer=1 iui=0
_ds_load_u16_d16_hi v56, v[vgprLocalReadAddrA] offset:40448 // L -> Reg lro=3072 swapByteOffset=32768 ti=256 vIdx=0 rIdx=3 oIdx=0 buffer=1 iui=0
_ds_load_b64 v[vgprValuB_X1_I0+0:vgprValuB_X1_I0+0+1], v[vgprLocalReadAddrB] offset:32792 // L -> Reg lro=12 swapByteOffset=32768 ti=128 vIdx=0 rIdx=0 oIdx=0 buffer=1 iui=0
_ds_load_u16 v[vgprValuA_X1_I0+2], v[vgprLocalReadAddrA] offset:38914 // L -> Reg lro=3072 swapByteOffset=32768 ti=256 vIdx=0 rIdx=0 oIdx=0 buffer=1 iui=0
s_waitcnt lgkmcnt(6)                               // lgkmcnt=0 vmcnt=-1wait for prior local read local write old=0, new=6 newLW=0 newLR=6
/* pack scheduling: packAIdx:2, packBIdx:0 */
v_or_b32 v[vgprValuA_X0_I0+0], v[vgprValuA_X0_I0+0], v51 // pack two half Vgpr to one Vgpr
v_or_b32 v[vgprValuA_X0_I0+1], v[vgprValuA_X0_I0+1], v52 // pack two half Vgpr to one Vgpr
v_or_b32 v[vgprValuA_X0_I0+2], v[vgprValuA_X0_I0+2], v53 // pack two half Vgpr to one Vgpr
v_or_b32 v[vgprValuA_X0_I0+3], v[vgprValuA_X0_I0+3], v54 // pack two half Vgpr to one Vgpr
v_mfma_f32_32x32x4f16 a[0+0:31+0], v[vgprValuA_X0_I0+0+0+0:vgprValuA_X0_I0+0+0+0+1], v[vgprValuB_X0_I0+0+0+0:vgprValuB_X0_I0+0+0+0+1], a[0:31]
/*  mfmaIndex:9  */
_ds_load_u16_d16_hi v57, v[vgprLocalReadAddrA] offset:39426 // L -> Reg lro=3072 swapByteOffset=32768 ti=256 vIdx=0 rIdx=1 oIdx=0 buffer=1 iui=0
_ds_load_u16 v[vgprValuA_X1_I0+3], v[vgprLocalReadAddrA] offset:39938 // L -> Reg lro=3072 swapByteOffset=32768 ti=256 vIdx=0 rIdx=2 oIdx=0 buffer=1 iui=0
_ds_load_u16_d16_hi v58, v[vgprLocalReadAddrA] offset:40450 // L -> Reg lro=3072 swapByteOffset=32768 ti=256 vIdx=0 rIdx=3 oIdx=0 buffer=1 iui=0
_ds_load_b64 v[vgprValuB_X1_I0+2:vgprValuB_X1_I0+2+1], v[vgprLocalReadAddrB] offset:32856 // L -> Reg lro=12 swapByteOffset=32768 ti=128 vIdx=0 rIdx=0 oIdx=0 buffer=1 iui=0
/* localReadsVacancy: latencyLeft 5 */
v_mfma_f32_32x32x4f16 a[32+0:63+0], v[vgprValuA_X0_I0+2+0+0:vgprValuA_X0_I0+2+0+0+1], v[vgprValuB_X0_I0+0+0+0:vgprValuB_X0_I0+0+0+0+1], a[32:63]
/*  mfmaIndex:10  */
/* localReadsVacancy: latencyLeft 13 */
v_mfma_f32_32x32x4f16 a[96+0:127+0], v[vgprValuA_X0_I0+2+0+0:vgprValuA_X0_I0+2+0+0+1], v[vgprValuB_X0_I0+2+0+0:vgprValuB_X0_I0+2+0+0+1], a[96:127]
/*  mfmaIndex:11  */
/* localReadsVacancy: latencyLeft 13 */
v_mfma_f32_32x32x4f16 a[64+0:95+0], v[vgprValuA_X0_I0+0+0+0:vgprValuA_X0_I0+0+0+0+1], v[vgprValuB_X0_I0+2+0+0:vgprValuB_X0_I0+2+0+0+1], a[64:95]
/* numPrefetchIter=0 */
/* dataAtIterA=1 numReadsIterA=3 skipReadsIterA=1 readsPerIterA=8 */
/* dataAtIterB=1 numReadsIterB=3 skipReadsIterB=1 readsPerIterB=2 */


/* iter 3 */

/*  grEndMfmaIndex:5, lwStartMfmaIndex:22, lwEndMfmaIndex:27  */
/*  numMfmaForLR:2, barrierMfmaIndex:29 */
/*  mfmaIndex:12  */
_ds_load_u16 v[vgprValuA_X0_I0+0], v[vgprLocalReadAddrA] offset:40960 // L -> Reg lro=4096 swapByteOffset=32768 ti=256 vIdx=0 rIdx=0 oIdx=0 buffer=0 iui=0
_ds_load_u16_d16_hi v51, v[vgprLocalReadAddrA] offset:41472 // L -> Reg lro=4096 swapByteOffset=32768 ti=256 vIdx=0 rIdx=1 oIdx=0 buffer=0 iui=0
_ds_load_u16 v[vgprValuA_X0_I0+1], v[vgprLocalReadAddrA] offset:41984 // L -> Reg lro=4096 swapByteOffset=32768 ti=256 vIdx=0 rIdx=2 oIdx=0 buffer=0 iui=0
_ds_load_u16_d16_hi v52, v[vgprLocalReadAddrA] offset:42496 // L -> Reg lro=4096 swapByteOffset=32768 ti=256 vIdx=0 rIdx=3 oIdx=0 buffer=0 iui=0
_ds_load_b64 v[vgprValuB_X0_I0+0:vgprValuB_X0_I0+0+1], v[vgprLocalReadAddrB] offset:32800 // L -> Reg lro=16 swapByteOffset=32768 ti=128 vIdx=0 rIdx=0 oIdx=0 buffer=0 iui=0
_ds_load_u16 v[vgprValuA_X0_I0+2], v[vgprLocalReadAddrA] offset:40962 // L -> Reg lro=4096 swapByteOffset=32768 ti=256 vIdx=0 rIdx=0 oIdx=0 buffer=0 iui=0
s_waitcnt lgkmcnt(6)                               // lgkmcnt=0 vmcnt=-1wait for prior local read local write old=0, new=6 newLW=0 newLR=6
/* pack scheduling: packAIdx:2, packBIdx:0 */
v_or_b32 v[vgprValuA_X1_I0+0], v[vgprValuA_X1_I0+0], v55 // pack two half Vgpr to one Vgpr
v_or_b32 v[vgprValuA_X1_I0+1], v[vgprValuA_X1_I0+1], v56 // pack two half Vgpr to one Vgpr
	;; [unrolled: 1-line block ×4, first 2 shown]
v_mfma_f32_32x32x4f16 a[0+0:31+0], v[vgprValuA_X1_I0+0+0+0:vgprValuA_X1_I0+0+0+0+1], v[vgprValuB_X1_I0+0+0+0:vgprValuB_X1_I0+0+0+0+1], a[0:31]
/*  mfmaIndex:13  */
_ds_load_u16_d16_hi v53, v[vgprLocalReadAddrA] offset:41474 // L -> Reg lro=4096 swapByteOffset=32768 ti=256 vIdx=0 rIdx=1 oIdx=0 buffer=0 iui=0
_ds_load_u16 v[vgprValuA_X0_I0+3], v[vgprLocalReadAddrA] offset:41986 // L -> Reg lro=4096 swapByteOffset=32768 ti=256 vIdx=0 rIdx=2 oIdx=0 buffer=0 iui=0
_ds_load_u16_d16_hi v54, v[vgprLocalReadAddrA] offset:42498 // L -> Reg lro=4096 swapByteOffset=32768 ti=256 vIdx=0 rIdx=3 oIdx=0 buffer=0 iui=0
_ds_load_b64 v[vgprValuB_X0_I0+2:vgprValuB_X0_I0+2+1], v[vgprLocalReadAddrB] offset:32864 // L -> Reg lro=16 swapByteOffset=32768 ti=128 vIdx=0 rIdx=0 oIdx=0 buffer=0 iui=0
/* localReadsVacancy: latencyLeft 5 */
v_mfma_f32_32x32x4f16 a[32+0:63+0], v[vgprValuA_X1_I0+2+0+0:vgprValuA_X1_I0+2+0+0+1], v[vgprValuB_X1_I0+0+0+0:vgprValuB_X1_I0+0+0+0+1], a[32:63]
/*  mfmaIndex:14  */
/* localReadsVacancy: latencyLeft 13 */
v_mfma_f32_32x32x4f16 a[96+0:127+0], v[vgprValuA_X1_I0+2+0+0:vgprValuA_X1_I0+2+0+0+1], v[vgprValuB_X1_I0+2+0+0:vgprValuB_X1_I0+2+0+0+1], a[96:127]
/*  mfmaIndex:15  */
/* localReadsVacancy: latencyLeft 13 */
v_mfma_f32_32x32x4f16 a[64+0:95+0], v[vgprValuA_X1_I0+0+0+0:vgprValuA_X1_I0+0+0+0+1], v[vgprValuB_X1_I0+2+0+0:vgprValuB_X1_I0+2+0+0+1], a[64:95]
/* numPrefetchIter=0 */
/* dataAtIterA=2 numReadsIterA=4 skipReadsIterA=1 readsPerIterA=8 */
/* dataAtIterB=2 numReadsIterB=4 skipReadsIterB=1 readsPerIterB=2 */


/* iter 4 */

/*  grEndMfmaIndex:5, lwStartMfmaIndex:22, lwEndMfmaIndex:27  */
/*  numMfmaForLR:2, barrierMfmaIndex:29 */
/*  mfmaIndex:16  */
_ds_load_u16 v[vgprValuA_X1_I0+0], v[vgprLocalReadAddrA] offset:43008 // L -> Reg lro=5120 swapByteOffset=32768 ti=256 vIdx=0 rIdx=0 oIdx=0 buffer=1 iui=0
_ds_load_u16_d16_hi v55, v[vgprLocalReadAddrA] offset:43520 // L -> Reg lro=5120 swapByteOffset=32768 ti=256 vIdx=0 rIdx=1 oIdx=0 buffer=1 iui=0
_ds_load_u16 v[vgprValuA_X1_I0+1], v[vgprLocalReadAddrA] offset:44032 // L -> Reg lro=5120 swapByteOffset=32768 ti=256 vIdx=0 rIdx=2 oIdx=0 buffer=1 iui=0
_ds_load_u16_d16_hi v56, v[vgprLocalReadAddrA] offset:44544 // L -> Reg lro=5120 swapByteOffset=32768 ti=256 vIdx=0 rIdx=3 oIdx=0 buffer=1 iui=0
_ds_load_b64 v[vgprValuB_X1_I0+0:vgprValuB_X1_I0+0+1], v[vgprLocalReadAddrB] offset:32808 // L -> Reg lro=20 swapByteOffset=32768 ti=128 vIdx=0 rIdx=0 oIdx=0 buffer=1 iui=0
_ds_load_u16 v[vgprValuA_X1_I0+2], v[vgprLocalReadAddrA] offset:43010 // L -> Reg lro=5120 swapByteOffset=32768 ti=256 vIdx=0 rIdx=0 oIdx=0 buffer=1 iui=0
s_waitcnt lgkmcnt(6)                               // lgkmcnt=0 vmcnt=-1wait for prior local read local write old=0, new=6 newLW=0 newLR=6
/* pack scheduling: packAIdx:2, packBIdx:0 */
v_or_b32 v[vgprValuA_X0_I0+0], v[vgprValuA_X0_I0+0], v51 // pack two half Vgpr to one Vgpr
v_or_b32 v[vgprValuA_X0_I0+1], v[vgprValuA_X0_I0+1], v52 // pack two half Vgpr to one Vgpr
	;; [unrolled: 1-line block ×4, first 2 shown]
v_mfma_f32_32x32x4f16 a[0+0:31+0], v[vgprValuA_X0_I0+0+0+0:vgprValuA_X0_I0+0+0+0+1], v[vgprValuB_X0_I0+0+0+0:vgprValuB_X0_I0+0+0+0+1], a[0:31]
/*  mfmaIndex:17  */
_ds_load_u16_d16_hi v57, v[vgprLocalReadAddrA] offset:43522 // L -> Reg lro=5120 swapByteOffset=32768 ti=256 vIdx=0 rIdx=1 oIdx=0 buffer=1 iui=0
_ds_load_u16 v[vgprValuA_X1_I0+3], v[vgprLocalReadAddrA] offset:44034 // L -> Reg lro=5120 swapByteOffset=32768 ti=256 vIdx=0 rIdx=2 oIdx=0 buffer=1 iui=0
_ds_load_u16_d16_hi v58, v[vgprLocalReadAddrA] offset:44546 // L -> Reg lro=5120 swapByteOffset=32768 ti=256 vIdx=0 rIdx=3 oIdx=0 buffer=1 iui=0
_ds_load_b64 v[vgprValuB_X1_I0+2:vgprValuB_X1_I0+2+1], v[vgprLocalReadAddrB] offset:32872 // L -> Reg lro=20 swapByteOffset=32768 ti=128 vIdx=0 rIdx=0 oIdx=0 buffer=1 iui=0
/* localReadsVacancy: latencyLeft 5 */
v_mfma_f32_32x32x4f16 a[32+0:63+0], v[vgprValuA_X0_I0+2+0+0:vgprValuA_X0_I0+2+0+0+1], v[vgprValuB_X0_I0+0+0+0:vgprValuB_X0_I0+0+0+0+1], a[32:63]
/*  mfmaIndex:18  */
/* localReadsVacancy: latencyLeft 13 */
v_mfma_f32_32x32x4f16 a[96+0:127+0], v[vgprValuA_X0_I0+2+0+0:vgprValuA_X0_I0+2+0+0+1], v[vgprValuB_X0_I0+2+0+0:vgprValuB_X0_I0+2+0+0+1], a[96:127]
/*  mfmaIndex:19  */
/* localReadsVacancy: latencyLeft 13 */
v_mfma_f32_32x32x4f16 a[64+0:95+0], v[vgprValuA_X0_I0+0+0+0:vgprValuA_X0_I0+0+0+0+1], v[vgprValuB_X0_I0+2+0+0:vgprValuB_X0_I0+2+0+0+1], a[64:95]
/* numPrefetchIter=0 */
/* dataAtIterA=3 numReadsIterA=5 skipReadsIterA=1 readsPerIterA=8 */
/* dataAtIterB=3 numReadsIterB=5 skipReadsIterB=1 readsPerIterB=2 */


/* iter 5 */

/*  grEndMfmaIndex:5, lwStartMfmaIndex:22, lwEndMfmaIndex:27  */
/*  numMfmaForLR:2, barrierMfmaIndex:29 */
/*  mfmaIndex:20  */
_ds_load_u16 v[vgprValuA_X0_I0+0], v[vgprLocalReadAddrA] offset:45056 // L -> Reg lro=6144 swapByteOffset=32768 ti=256 vIdx=0 rIdx=0 oIdx=0 buffer=0 iui=0
_ds_load_u16_d16_hi v51, v[vgprLocalReadAddrA] offset:45568 // L -> Reg lro=6144 swapByteOffset=32768 ti=256 vIdx=0 rIdx=1 oIdx=0 buffer=0 iui=0
_ds_load_u16 v[vgprValuA_X0_I0+1], v[vgprLocalReadAddrA] offset:46080 // L -> Reg lro=6144 swapByteOffset=32768 ti=256 vIdx=0 rIdx=2 oIdx=0 buffer=0 iui=0
_ds_load_u16_d16_hi v52, v[vgprLocalReadAddrA] offset:46592 // L -> Reg lro=6144 swapByteOffset=32768 ti=256 vIdx=0 rIdx=3 oIdx=0 buffer=0 iui=0
_ds_load_b64 v[vgprValuB_X0_I0+0:vgprValuB_X0_I0+0+1], v[vgprLocalReadAddrB] offset:32816 // L -> Reg lro=24 swapByteOffset=32768 ti=128 vIdx=0 rIdx=0 oIdx=0 buffer=0 iui=0
_ds_load_u16 v[vgprValuA_X0_I0+2], v[vgprLocalReadAddrA] offset:45058 // L -> Reg lro=6144 swapByteOffset=32768 ti=256 vIdx=0 rIdx=0 oIdx=0 buffer=0 iui=0
s_waitcnt lgkmcnt(6)                               // lgkmcnt=0 vmcnt=-1wait for prior local read local write old=0, new=6 newLW=0 newLR=6
/* pack scheduling: packAIdx:2, packBIdx:0 */
v_or_b32 v[vgprValuA_X1_I0+0], v[vgprValuA_X1_I0+0], v55 // pack two half Vgpr to one Vgpr
v_or_b32 v[vgprValuA_X1_I0+1], v[vgprValuA_X1_I0+1], v56 // pack two half Vgpr to one Vgpr
	;; [unrolled: 1-line block ×4, first 2 shown]
v_mfma_f32_32x32x4f16 a[0+0:31+0], v[vgprValuA_X1_I0+0+0+0:vgprValuA_X1_I0+0+0+0+1], v[vgprValuB_X1_I0+0+0+0:vgprValuB_X1_I0+0+0+0+1], a[0:31]
/*  mfmaIndex:21  */
_ds_load_u16_d16_hi v53, v[vgprLocalReadAddrA] offset:45570 // L -> Reg lro=6144 swapByteOffset=32768 ti=256 vIdx=0 rIdx=1 oIdx=0 buffer=0 iui=0
_ds_load_u16 v[vgprValuA_X0_I0+3], v[vgprLocalReadAddrA] offset:46082 // L -> Reg lro=6144 swapByteOffset=32768 ti=256 vIdx=0 rIdx=2 oIdx=0 buffer=0 iui=0
_ds_load_u16_d16_hi v54, v[vgprLocalReadAddrA] offset:46594 // L -> Reg lro=6144 swapByteOffset=32768 ti=256 vIdx=0 rIdx=3 oIdx=0 buffer=0 iui=0
_ds_load_b64 v[vgprValuB_X0_I0+2:vgprValuB_X0_I0+2+1], v[vgprLocalReadAddrB] offset:32880 // L -> Reg lro=24 swapByteOffset=32768 ti=128 vIdx=0 rIdx=0 oIdx=0 buffer=0 iui=0
/* localReadsVacancy: latencyLeft 5 */
v_mfma_f32_32x32x4f16 a[32+0:63+0], v[vgprValuA_X1_I0+2+0+0:vgprValuA_X1_I0+2+0+0+1], v[vgprValuB_X1_I0+0+0+0:vgprValuB_X1_I0+0+0+0+1], a[32:63]
/*  mfmaIndex:22  */
/* localReadsVacancy: latencyLeft 3 */
/* sched write - iter 5 writesPerItem=1 */
s_waitcnt vmcnt(0)                                 // lgkmcnt=-1 vmcnt=0wait for global read before writing to local
_ds_store_b128 v[vgprLocalWriteAddrA], v[vgprG2LA+0:vgprG2LA+0+3] offset:0 // lwoA_0_0_0_0 = (0*LSCA) + (0*LSPA)(*MT0I+PAD) = 0
v_mfma_f32_32x32x4f16 a[96+0:127+0], v[vgprValuA_X1_I0+2+0+0:vgprValuA_X1_I0+2+0+0+1], v[vgprValuB_X1_I0+2+0+0:vgprValuB_X1_I0+2+0+0+1], a[96:127]
/*  mfmaIndex:23  */
/* localReadsVacancy: latencyLeft 3 */
/* sched write - iter 5 writesPerItem=1 */
s_waitcnt vmcnt(0)                                 // lgkmcnt=-1 vmcnt=0wait for global read before writing to local
_ds_store_b128 v[vgprLocalWriteAddrA], v[vgprG2LA+4:vgprG2LA+4+3] offset:1024 // lwoA_0_0_1_0 = (0*LSCA) + (1*LSPA)(*MT0I+PAD) = 1024
v_mfma_f32_32x32x4f16 a[64+0:95+0], v[vgprValuA_X1_I0+0+0+0:vgprValuA_X1_I0+0+0+0+1], v[vgprValuB_X1_I0+2+0+0:vgprValuB_X1_I0+2+0+0+1], a[64:95]
/* numPrefetchIter=0 */
/* dataAtIterA=4 numReadsIterA=6 skipReadsIterA=1 readsPerIterA=8 */
/* dataAtIterB=4 numReadsIterB=6 skipReadsIterB=1 readsPerIterB=2 */


/* iter 6 (reset local read pointers iteration)  (swap and reset local write pointers iteration)  (swap local read pointers iteration)  */

/*  grEndMfmaIndex:5, lwStartMfmaIndex:22, lwEndMfmaIndex:27  */
/*  numMfmaForLR:2, barrierMfmaIndex:29 */
/*  mfmaIndex:24  */
_ds_load_u16 v[vgprValuA_X1_I0+0], v[vgprLocalReadAddrA] offset:47104 // L -> Reg lro=7168 swapByteOffset=32768 ti=256 vIdx=0 rIdx=0 oIdx=0 buffer=1 iui=0
_ds_load_u16_d16_hi v55, v[vgprLocalReadAddrA] offset:47616 // L -> Reg lro=7168 swapByteOffset=32768 ti=256 vIdx=0 rIdx=1 oIdx=0 buffer=1 iui=0
_ds_load_u16 v[vgprValuA_X1_I0+1], v[vgprLocalReadAddrA] offset:48128 // L -> Reg lro=7168 swapByteOffset=32768 ti=256 vIdx=0 rIdx=2 oIdx=0 buffer=1 iui=0
/* sched write - iter 6 writesPerItem=1 */
s_waitcnt vmcnt(0)                                 // lgkmcnt=-1 vmcnt=0wait for global read before writing to local
_ds_store_b128 v[vgprLocalWriteAddrA], v[vgprG2LA+8:vgprG2LA+8+3] offset:2048 // lwoA_0_0_2_0 = (0*LSCA) + (2*LSPA)(*MT0I+PAD) = 2048
s_waitcnt lgkmcnt(6)                               // lgkmcnt=0 vmcnt=-1wait for prior local read local write old=0, new=6 newLW=3 newLR=3
/* pack scheduling: packAIdx:2, packBIdx:0 */
v_or_b32 v[vgprValuA_X0_I0+0], v[vgprValuA_X0_I0+0], v51 // pack two half Vgpr to one Vgpr
v_or_b32 v[vgprValuA_X0_I0+1], v[vgprValuA_X0_I0+1], v52 // pack two half Vgpr to one Vgpr
	;; [unrolled: 1-line block ×4, first 2 shown]
v_mfma_f32_32x32x4f16 a[0+0:31+0], v[vgprValuA_X0_I0+0+0+0:vgprValuA_X0_I0+0+0+0+1], v[vgprValuB_X0_I0+0+0+0:vgprValuB_X0_I0+0+0+0+1], a[0:31]
/*  mfmaIndex:25  */
_ds_load_u16_d16_hi v56, v[vgprLocalReadAddrA] offset:48640 // L -> Reg lro=7168 swapByteOffset=32768 ti=256 vIdx=0 rIdx=3 oIdx=0 buffer=1 iui=0
_ds_load_b64 v[vgprValuB_X1_I0+0:vgprValuB_X1_I0+0+1], v[vgprLocalReadAddrB] offset:32824 // L -> Reg lro=28 swapByteOffset=32768 ti=128 vIdx=0 rIdx=0 oIdx=0 buffer=1 iui=0
_ds_load_u16 v[vgprValuA_X1_I0+2], v[vgprLocalReadAddrA] offset:47106 // L -> Reg lro=7168 swapByteOffset=32768 ti=256 vIdx=0 rIdx=0 oIdx=0 buffer=1 iui=0
/* sched write - iter 6 writesPerItem=1 */
s_waitcnt vmcnt(0)                                 // lgkmcnt=-1 vmcnt=0wait for global read before writing to local
_ds_store_b128 v[vgprLocalWriteAddrA], v[vgprG2LA+12:vgprG2LA+12+3] offset:3072 // lwoA_0_0_3_0 = (0*LSCA) + (3*LSPA)(*MT0I+PAD) = 3072
v_mfma_f32_32x32x4f16 a[32+0:63+0], v[vgprValuA_X0_I0+2+0+0:vgprValuA_X0_I0+2+0+0+1], v[vgprValuB_X0_I0+0+0+0:vgprValuB_X0_I0+0+0+0+1], a[32:63]
/*  mfmaIndex:26  */
_ds_load_u16_d16_hi v57, v[vgprLocalReadAddrA] offset:47618 // L -> Reg lro=7168 swapByteOffset=32768 ti=256 vIdx=0 rIdx=1 oIdx=0 buffer=1 iui=0
_ds_load_u16 v[vgprValuA_X1_I0+3], v[vgprLocalReadAddrA] offset:48130 // L -> Reg lro=7168 swapByteOffset=32768 ti=256 vIdx=0 rIdx=2 oIdx=0 buffer=1 iui=0
/* sched write - iter 6 writesPerItem=1 */
s_waitcnt vmcnt(0)                                 // lgkmcnt=-1 vmcnt=0wait for global read before writing to local
_ds_store_b128 v[vgprLocalWriteAddrB], v[vgprG2LB+0:vgprG2LB+0+3] offset:0 // lwoB_0_0_0_0 = (0*LSCB)*(MT1J+PAD) + (0*LSPB) = 0
v_mfma_f32_32x32x4f16 a[96+0:127+0], v[vgprValuA_X0_I0+2+0+0:vgprValuA_X0_I0+2+0+0+1], v[vgprValuB_X0_I0+2+0+0:vgprValuB_X0_I0+2+0+0+1], a[96:127]
/*  mfmaIndex:27  */
_ds_load_u16_d16_hi v58, v[vgprLocalReadAddrA] offset:48642 // L -> Reg lro=7168 swapByteOffset=32768 ti=256 vIdx=0 rIdx=3 oIdx=0 buffer=1 iui=0
_ds_load_b64 v[vgprValuB_X1_I0+2:vgprValuB_X1_I0+2+1], v[vgprLocalReadAddrB] offset:32888 // L -> Reg lro=28 swapByteOffset=32768 ti=128 vIdx=0 rIdx=0 oIdx=0 buffer=1 iui=0
/* sched write - iter 6 writesPerItem=1 */
s_waitcnt vmcnt(0)                                 // lgkmcnt=-1 vmcnt=0wait for global read before writing to local
_ds_store_b128 v[vgprLocalWriteAddrB], v[vgprG2LB+4:vgprG2LB+4+3] offset:1152 // lwoB_0_0_1_0 = (0*LSCB)*(MT1J+PAD) + (1*LSPB) = 1152

/* local write swap offsets a */

/* (EPS=1) local write swap internal offset -> 32768 */

/* local write swap offsets b */

/* (EPS=1) local write swap internal offset -> 32768 */

/* local read swap offsets a */

/* local read swap internal offset -> 0 */

/* local read swap offsets b */

/* local read swap internal offset -> 0 */

/* local read init pointers a */

/* localReadInitPointers */

/* local read init pointers b */

/* localReadInitPointers */
v_mfma_f32_32x32x4f16 a[64+0:95+0], v[vgprValuA_X0_I0+0+0+0:vgprValuA_X0_I0+0+0+0+1], v[vgprValuB_X0_I0+2+0+0:vgprValuB_X0_I0+2+0+0+1], a[64:95]
/* numPrefetchIter=0 */
/* dataAtIterA=5 numReadsIterA=7 skipReadsIterA=1 readsPerIterA=8 */
/* dataAtIterB=5 numReadsIterB=7 skipReadsIterB=1 readsPerIterB=2 */


/* iter 7 */

/*  grEndMfmaIndex:5, lwStartMfmaIndex:22, lwEndMfmaIndex:27  */
/*  numMfmaForLR:2, barrierMfmaIndex:29 */
/*  mfmaIndex:28  */
s_waitcnt lgkmcnt(1)                               // lgkmcnt=0 vmcnt=-1wait for prior local read local write old=0, new=1 newLW=1 newLR=0
/* pack scheduling: packAIdx:2, packBIdx:0 */
v_or_b32 v[vgprValuA_X1_I0+0], v[vgprValuA_X1_I0+0], v55 // pack two half Vgpr to one Vgpr
v_or_b32 v[vgprValuA_X1_I0+1], v[vgprValuA_X1_I0+1], v56 // pack two half Vgpr to one Vgpr
	;; [unrolled: 1-line block ×4, first 2 shown]
v_mfma_f32_32x32x4f16 a[0+0:31+0], v[vgprValuA_X1_I0+0+0+0:vgprValuA_X1_I0+0+0+0+1], v[vgprValuB_X1_I0+0+0+0:vgprValuB_X1_I0+0+0+0+1], a[0:31]
/*  mfmaIndex:29  */
s_waitcnt lgkmcnt(0)                               // lgkmcnt=0 vmcnt=-13wait for local write
s_waitcnt lgkmcnt(0) & vmcnt(0)                    // force waitcnt0
s_barrier //
v_mfma_f32_32x32x4f16 a[32+0:63+0], v[vgprValuA_X1_I0+2+0+0:vgprValuA_X1_I0+2+0+0+1], v[vgprValuB_X1_I0+0+0+0:vgprValuB_X1_I0+0+0+0+1], a[32:63]
/*  mfmaIndex:30  */
_ds_load_u16 v[vgprValuA_X0_I0+0], v[vgprLocalReadAddrA] offset:0 // L -> Reg lro=0 swapByteOffset=0 ti=256 vIdx=0 rIdx=0 oIdx=0 buffer=0 iui=0
_ds_load_u16_d16_hi v51, v[vgprLocalReadAddrA] offset:512 // L -> Reg lro=0 swapByteOffset=0 ti=256 vIdx=0 rIdx=1 oIdx=0 buffer=0 iui=0
_ds_load_u16 v[vgprValuA_X0_I0+1], v[vgprLocalReadAddrA] offset:1024 // L -> Reg lro=0 swapByteOffset=0 ti=256 vIdx=0 rIdx=2 oIdx=0 buffer=0 iui=0
_ds_load_u16_d16_hi v52, v[vgprLocalReadAddrA] offset:1536 // L -> Reg lro=0 swapByteOffset=0 ti=256 vIdx=0 rIdx=3 oIdx=0 buffer=0 iui=0
_ds_load_b64 v[vgprValuB_X0_I0+0:vgprValuB_X0_I0+0+1], v[vgprLocalReadAddrB] offset:0 // L -> Reg lro=0 swapByteOffset=0 ti=128 vIdx=0 rIdx=0 oIdx=0 buffer=0 iui=0
_ds_load_u16 v[vgprValuA_X0_I0+2], v[vgprLocalReadAddrA] offset:2 // L -> Reg lro=0 swapByteOffset=0 ti=256 vIdx=0 rIdx=0 oIdx=0 buffer=0 iui=0
v_mfma_f32_32x32x4f16 a[96+0:127+0], v[vgprValuA_X1_I0+2+0+0:vgprValuA_X1_I0+2+0+0+1], v[vgprValuB_X1_I0+2+0+0:vgprValuB_X1_I0+2+0+0+1], a[96:127]
/*  mfmaIndex:31  */
_ds_load_u16_d16_hi v53, v[vgprLocalReadAddrA] offset:514 // L -> Reg lro=0 swapByteOffset=0 ti=256 vIdx=0 rIdx=1 oIdx=0 buffer=0 iui=0
_ds_load_u16 v[vgprValuA_X0_I0+3], v[vgprLocalReadAddrA] offset:1026 // L -> Reg lro=0 swapByteOffset=0 ti=256 vIdx=0 rIdx=2 oIdx=0 buffer=0 iui=0
_ds_load_u16_d16_hi v54, v[vgprLocalReadAddrA] offset:1538 // L -> Reg lro=0 swapByteOffset=0 ti=256 vIdx=0 rIdx=3 oIdx=0 buffer=0 iui=0
_ds_load_b64 v[vgprValuB_X0_I0+2:vgprValuB_X0_I0+2+1], v[vgprLocalReadAddrB] offset:64 // L -> Reg lro=0 swapByteOffset=0 ti=128 vIdx=0 rIdx=0 oIdx=0 buffer=0 iui=0
v_mfma_f32_32x32x4f16 a[64+0:95+0], v[vgprValuA_X1_I0+0+0+0:vgprValuA_X1_I0+0+0+0+1], v[vgprValuB_X1_I0+2+0+0:vgprValuB_X1_I0+2+0+0+1], a[64:95]
/* numPrefetchIter=1 */
/* dataAtIterA=6 numReadsIterA=7 skipReadsIterA=1 readsPerIterA=8 */
/* dataAtIterB=6 numReadsIterB=7 skipReadsIterB=1 readsPerIterB=2 */


/******************************************/
/* Unrolled Loop - End 2/2 (final)        */
/******************************************/


/* closeLoop loopL finalLoop=1 tailLoop=0 */
s_sub_u32 s[sgprLoopCounterL], s[sgprLoopCounterL], 1 // dec counterL
s_cmp_eq_i32 s[sgprLoopCounterL], 0x1              // counterL==1
s_cbranch_scc0 LoopBeginL_1                        // restart LoopL
LoopEndL_evenexit_4: // unroll loop eveniter exit
s_branch LoopEndL_2                                // exit unroll loopL (and skip second exit code)
LoopEndL_oddexit_3: // unroll loop odditer exit

/* Select high bank of LDS */
v_xor_b32 v[vgprLocalReadAddrA], 0x8000, v[vgprLocalReadAddrA] // swap Red Blk
v_xor_b32 v[vgprLocalReadAddrB], 0x8000, v[vgprLocalReadAddrB] // swap Red Blk
LoopEndL_2:


/* Before NLL: Check VGPR.checkin for INT8 LW */


/******************************************/
/* Opt. NoLoadLoop Without PAP - Begin                                      */
/******************************************/

s_cmpk_eq_u32 s[sgprBeta], 0x0                     // Beta == 0
s_cbranch_scc0 OptNLL_End_15                       // Branch if Beta is not zero

s_cmp_eq_u32 s[sgprAlpha], 1.0                     // Alpha == 1.0 ?
s_cbranch_scc0 OptNLL_End_15                       // branch if alpha != 1

s_and_b32 s32, 255, s[sgprSizeI]                   // s32 = s[sgprSizeI] % 256
s_add_u32 s33, -0x1, s[sgprNumWorkGroups0]         // 
s_cmp_ge_u32 s[sgprWorkGroup0], s33                // wg0 >= nwg0-1 ?
s_cselect_b32 s32, s32, 0                          // set rMT0
s_cmpk_gt_u32 s32, 0x0                             // rMT0 > 0
s_cbranch_scc1 OptNLL_End_15                       // jump if edges required
s_and_b32 s32, 127, s[sgprSizeJ]                   // s32 = s[sgprSizeJ] % 128
s_add_u32 s33, -0x1, s[sgprNumWorkGroups1]         // 
s_cmp_ge_u32 s[sgprWorkGroup1], s33                // wg1 >= nwg1-1
s_cselect_b32 s32, s32, 0                          // set rMT1
s_cmpk_gt_u32 s32, 0x0                             // rMT1 > 0
s_cbranch_scc1 OptNLL_End_15                       // jump if edges required

s_and_b32 s33, 31, s[sgprSizesSum+0]               // s33 = s[sgprSizesSum+0] % 32
s_cmp_eq_u32 s33, 0x0                              // numIterL == 0
s_cbranch_scc0 OptNLL_End_15                       // skip if tail loop required


	;; [unrolled: 1-line block ×3, first 2 shown]
/* iter 0 (last unrolled loop) */

/*  grEndMfmaIndex:0, lwStartMfmaIndex:27, lwEndMfmaIndex:27  */
/*  numMfmaForLR:2, barrierMfmaIndex:29 */
/*  mfmaIndex:0  */
s_waitcnt lgkmcnt(0)                               // lgkmcnt=0 vmcnt=-1wait for prior local read local write old=0, new=0 newLW=0 newLR=0
/* pack scheduling: packAIdx:2, packBIdx:0 */
v_or_b32 v[vgprValuA_X0_I0+0], v[vgprValuA_X0_I0+0], v51 // pack two half Vgpr to one Vgpr
v_or_b32 v[vgprValuA_X0_I0+1], v[vgprValuA_X0_I0+1], v52 // pack two half Vgpr to one Vgpr
	;; [unrolled: 1-line block ×4, first 2 shown]
v_mfma_f32_32x32x4f16 a[0+0:31+0], v[vgprValuA_X0_I0+0+0+0:vgprValuA_X0_I0+0+0+0+1], v[vgprValuB_X0_I0+0+0+0:vgprValuB_X0_I0+0+0+0+1], a[0:31]
/*  mfmaIndex:1  */
_ds_load_u16 v[vgprValuA_X1_I0+0], v[vgprLocalReadAddrA] offset:2048 // L -> Reg lro=1024 swapByteOffset=0 ti=256 vIdx=0 rIdx=0 oIdx=0 buffer=1 iui=0
_ds_load_u16_d16_hi v55, v[vgprLocalReadAddrA] offset:2560 // L -> Reg lro=1024 swapByteOffset=0 ti=256 vIdx=0 rIdx=1 oIdx=0 buffer=1 iui=0
_ds_load_u16 v[vgprValuA_X1_I0+1], v[vgprLocalReadAddrA] offset:3072 // L -> Reg lro=1024 swapByteOffset=0 ti=256 vIdx=0 rIdx=2 oIdx=0 buffer=1 iui=0
_ds_load_u16_d16_hi v56, v[vgprLocalReadAddrA] offset:3584 // L -> Reg lro=1024 swapByteOffset=0 ti=256 vIdx=0 rIdx=3 oIdx=0 buffer=1 iui=0
_ds_load_b64 v[vgprValuB_X1_I0+0:vgprValuB_X1_I0+0+1], v[vgprLocalReadAddrB] offset:8 // L -> Reg lro=4 swapByteOffset=0 ti=128 vIdx=0 rIdx=0 oIdx=0 buffer=1 iui=0
_ds_load_u16 v[vgprValuA_X1_I0+2], v[vgprLocalReadAddrA] offset:2050 // L -> Reg lro=1024 swapByteOffset=0 ti=256 vIdx=0 rIdx=0 oIdx=0 buffer=1 iui=0
v_mfma_f32_32x32x4f16 a[32+0:63+0], v[vgprValuA_X0_I0+2+0+0:vgprValuA_X0_I0+2+0+0+1], v[vgprValuB_X0_I0+0+0+0:vgprValuB_X0_I0+0+0+0+1], a[32:63]
/*  mfmaIndex:2  */
_ds_load_u16_d16_hi v57, v[vgprLocalReadAddrA] offset:2562 // L -> Reg lro=1024 swapByteOffset=0 ti=256 vIdx=0 rIdx=1 oIdx=0 buffer=1 iui=0
_ds_load_u16 v[vgprValuA_X1_I0+3], v[vgprLocalReadAddrA] offset:3074 // L -> Reg lro=1024 swapByteOffset=0 ti=256 vIdx=0 rIdx=2 oIdx=0 buffer=1 iui=0
_ds_load_u16_d16_hi v58, v[vgprLocalReadAddrA] offset:3586 // L -> Reg lro=1024 swapByteOffset=0 ti=256 vIdx=0 rIdx=3 oIdx=0 buffer=1 iui=0
_ds_load_b64 v[vgprValuB_X1_I0+2:vgprValuB_X1_I0+2+1], v[vgprLocalReadAddrB] offset:72 // L -> Reg lro=4 swapByteOffset=0 ti=128 vIdx=0 rIdx=0 oIdx=0 buffer=1 iui=0
/* localReadsVacancy: latencyLeft 5 */
v_mfma_f32_32x32x4f16 a[96+0:127+0], v[vgprValuA_X0_I0+2+0+0:vgprValuA_X0_I0+2+0+0+1], v[vgprValuB_X0_I0+2+0+0:vgprValuB_X0_I0+2+0+0+1], a[96:127]
/*  mfmaIndex:3  */
/* localReadsVacancy: latencyLeft 13 */
v_mfma_f32_32x32x4f16 a[64+0:95+0], v[vgprValuA_X0_I0+0+0+0:vgprValuA_X0_I0+0+0+0+1], v[vgprValuB_X0_I0+2+0+0:vgprValuB_X0_I0+2+0+0+1], a[64:95]
/* numPrefetchIter=0 */
/* dataAtIterA=-1 numReadsIterA=1 skipReadsIterA=1 readsPerIterA=8 */
/* dataAtIterB=-1 numReadsIterB=1 skipReadsIterB=1 readsPerIterB=2 */


/* iter 1 (last unrolled loop) */

/*  grEndMfmaIndex:0, lwStartMfmaIndex:27, lwEndMfmaIndex:27  */
/*  numMfmaForLR:2, barrierMfmaIndex:29 */
/*  mfmaIndex:4  */
_ds_load_u16 v[vgprValuA_X0_I0+0], v[vgprLocalReadAddrA] offset:4096 // L -> Reg lro=2048 swapByteOffset=0 ti=256 vIdx=0 rIdx=0 oIdx=0 buffer=0 iui=0
_ds_load_u16_d16_hi v51, v[vgprLocalReadAddrA] offset:4608 // L -> Reg lro=2048 swapByteOffset=0 ti=256 vIdx=0 rIdx=1 oIdx=0 buffer=0 iui=0
_ds_load_u16 v[vgprValuA_X0_I0+1], v[vgprLocalReadAddrA] offset:5120 // L -> Reg lro=2048 swapByteOffset=0 ti=256 vIdx=0 rIdx=2 oIdx=0 buffer=0 iui=0
_ds_load_u16_d16_hi v52, v[vgprLocalReadAddrA] offset:5632 // L -> Reg lro=2048 swapByteOffset=0 ti=256 vIdx=0 rIdx=3 oIdx=0 buffer=0 iui=0
_ds_load_b64 v[vgprValuB_X0_I0+0:vgprValuB_X0_I0+0+1], v[vgprLocalReadAddrB] offset:16 // L -> Reg lro=8 swapByteOffset=0 ti=128 vIdx=0 rIdx=0 oIdx=0 buffer=0 iui=0
_ds_load_u16 v[vgprValuA_X0_I0+2], v[vgprLocalReadAddrA] offset:4098 // L -> Reg lro=2048 swapByteOffset=0 ti=256 vIdx=0 rIdx=0 oIdx=0 buffer=0 iui=0
s_waitcnt lgkmcnt(6)                               // lgkmcnt=0 vmcnt=-1wait for prior local read local write old=0, new=6 newLW=0 newLR=6
/* pack scheduling: packAIdx:2, packBIdx:0 */
v_or_b32 v[vgprValuA_X1_I0+0], v[vgprValuA_X1_I0+0], v55 // pack two half Vgpr to one Vgpr
v_or_b32 v[vgprValuA_X1_I0+1], v[vgprValuA_X1_I0+1], v56 // pack two half Vgpr to one Vgpr
	;; [unrolled: 1-line block ×4, first 2 shown]
v_mfma_f32_32x32x4f16 a[0+0:31+0], v[vgprValuA_X1_I0+0+0+0:vgprValuA_X1_I0+0+0+0+1], v[vgprValuB_X1_I0+0+0+0:vgprValuB_X1_I0+0+0+0+1], a[0:31]
/*  mfmaIndex:5  */
_ds_load_u16_d16_hi v53, v[vgprLocalReadAddrA] offset:4610 // L -> Reg lro=2048 swapByteOffset=0 ti=256 vIdx=0 rIdx=1 oIdx=0 buffer=0 iui=0
_ds_load_u16 v[vgprValuA_X0_I0+3], v[vgprLocalReadAddrA] offset:5122 // L -> Reg lro=2048 swapByteOffset=0 ti=256 vIdx=0 rIdx=2 oIdx=0 buffer=0 iui=0
_ds_load_u16_d16_hi v54, v[vgprLocalReadAddrA] offset:5634 // L -> Reg lro=2048 swapByteOffset=0 ti=256 vIdx=0 rIdx=3 oIdx=0 buffer=0 iui=0
_ds_load_b64 v[vgprValuB_X0_I0+2:vgprValuB_X0_I0+2+1], v[vgprLocalReadAddrB] offset:80 // L -> Reg lro=8 swapByteOffset=0 ti=128 vIdx=0 rIdx=0 oIdx=0 buffer=0 iui=0
/* localReadsVacancy: latencyLeft 5 */
v_mfma_f32_32x32x4f16 a[32+0:63+0], v[vgprValuA_X1_I0+2+0+0:vgprValuA_X1_I0+2+0+0+1], v[vgprValuB_X1_I0+0+0+0:vgprValuB_X1_I0+0+0+0+1], a[32:63]
/*  mfmaIndex:6  */
/* localReadsVacancy: latencyLeft 13 */
v_mfma_f32_32x32x4f16 a[96+0:127+0], v[vgprValuA_X1_I0+2+0+0:vgprValuA_X1_I0+2+0+0+1], v[vgprValuB_X1_I0+2+0+0:vgprValuB_X1_I0+2+0+0+1], a[96:127]
/*  mfmaIndex:7  */
/* localReadsVacancy: latencyLeft 13 */
v_mfma_f32_32x32x4f16 a[64+0:95+0], v[vgprValuA_X1_I0+0+0+0:vgprValuA_X1_I0+0+0+0+1], v[vgprValuB_X1_I0+2+0+0:vgprValuB_X1_I0+2+0+0+1], a[64:95]
/* numPrefetchIter=0 */
/* dataAtIterA=0 numReadsIterA=2 skipReadsIterA=1 readsPerIterA=8 */
/* dataAtIterB=0 numReadsIterB=2 skipReadsIterB=1 readsPerIterB=2 */


/* iter 2 (last unrolled loop) */

/*  grEndMfmaIndex:0, lwStartMfmaIndex:27, lwEndMfmaIndex:27  */
/*  numMfmaForLR:2, barrierMfmaIndex:29 */
/*  mfmaIndex:8  */
_ds_load_u16 v[vgprValuA_X1_I0+0], v[vgprLocalReadAddrA] offset:6144 // L -> Reg lro=3072 swapByteOffset=0 ti=256 vIdx=0 rIdx=0 oIdx=0 buffer=1 iui=0
_ds_load_u16_d16_hi v55, v[vgprLocalReadAddrA] offset:6656 // L -> Reg lro=3072 swapByteOffset=0 ti=256 vIdx=0 rIdx=1 oIdx=0 buffer=1 iui=0
_ds_load_u16 v[vgprValuA_X1_I0+1], v[vgprLocalReadAddrA] offset:7168 // L -> Reg lro=3072 swapByteOffset=0 ti=256 vIdx=0 rIdx=2 oIdx=0 buffer=1 iui=0
_ds_load_u16_d16_hi v56, v[vgprLocalReadAddrA] offset:7680 // L -> Reg lro=3072 swapByteOffset=0 ti=256 vIdx=0 rIdx=3 oIdx=0 buffer=1 iui=0
_ds_load_b64 v[vgprValuB_X1_I0+0:vgprValuB_X1_I0+0+1], v[vgprLocalReadAddrB] offset:24 // L -> Reg lro=12 swapByteOffset=0 ti=128 vIdx=0 rIdx=0 oIdx=0 buffer=1 iui=0
_ds_load_u16 v[vgprValuA_X1_I0+2], v[vgprLocalReadAddrA] offset:6146 // L -> Reg lro=3072 swapByteOffset=0 ti=256 vIdx=0 rIdx=0 oIdx=0 buffer=1 iui=0
s_waitcnt lgkmcnt(6)                               // lgkmcnt=0 vmcnt=-1wait for prior local read local write old=0, new=6 newLW=0 newLR=6
/* pack scheduling: packAIdx:2, packBIdx:0 */
v_or_b32 v[vgprValuA_X0_I0+0], v[vgprValuA_X0_I0+0], v51 // pack two half Vgpr to one Vgpr
v_or_b32 v[vgprValuA_X0_I0+1], v[vgprValuA_X0_I0+1], v52 // pack two half Vgpr to one Vgpr
	;; [unrolled: 1-line block ×4, first 2 shown]
v_mfma_f32_32x32x4f16 a[0+0:31+0], v[vgprValuA_X0_I0+0+0+0:vgprValuA_X0_I0+0+0+0+1], v[vgprValuB_X0_I0+0+0+0:vgprValuB_X0_I0+0+0+0+1], a[0:31]
/*  mfmaIndex:9  */
_ds_load_u16_d16_hi v57, v[vgprLocalReadAddrA] offset:6658 // L -> Reg lro=3072 swapByteOffset=0 ti=256 vIdx=0 rIdx=1 oIdx=0 buffer=1 iui=0
_ds_load_u16 v[vgprValuA_X1_I0+3], v[vgprLocalReadAddrA] offset:7170 // L -> Reg lro=3072 swapByteOffset=0 ti=256 vIdx=0 rIdx=2 oIdx=0 buffer=1 iui=0
_ds_load_u16_d16_hi v58, v[vgprLocalReadAddrA] offset:7682 // L -> Reg lro=3072 swapByteOffset=0 ti=256 vIdx=0 rIdx=3 oIdx=0 buffer=1 iui=0
_ds_load_b64 v[vgprValuB_X1_I0+2:vgprValuB_X1_I0+2+1], v[vgprLocalReadAddrB] offset:88 // L -> Reg lro=12 swapByteOffset=0 ti=128 vIdx=0 rIdx=0 oIdx=0 buffer=1 iui=0
/* localReadsVacancy: latencyLeft 5 */
v_mfma_f32_32x32x4f16 a[32+0:63+0], v[vgprValuA_X0_I0+2+0+0:vgprValuA_X0_I0+2+0+0+1], v[vgprValuB_X0_I0+0+0+0:vgprValuB_X0_I0+0+0+0+1], a[32:63]
/*  mfmaIndex:10  */
/* localReadsVacancy: latencyLeft 13 */
v_mfma_f32_32x32x4f16 a[96+0:127+0], v[vgprValuA_X0_I0+2+0+0:vgprValuA_X0_I0+2+0+0+1], v[vgprValuB_X0_I0+2+0+0:vgprValuB_X0_I0+2+0+0+1], a[96:127]
/*  mfmaIndex:11  */
/* localReadsVacancy: latencyLeft 13 */
v_mfma_f32_32x32x4f16 a[64+0:95+0], v[vgprValuA_X0_I0+0+0+0:vgprValuA_X0_I0+0+0+0+1], v[vgprValuB_X0_I0+2+0+0:vgprValuB_X0_I0+2+0+0+1], a[64:95]
/* numPrefetchIter=0 */
/* dataAtIterA=1 numReadsIterA=3 skipReadsIterA=1 readsPerIterA=8 */
/* dataAtIterB=1 numReadsIterB=3 skipReadsIterB=1 readsPerIterB=2 */


/* iter 3 (last unrolled loop) */

/*  grEndMfmaIndex:0, lwStartMfmaIndex:27, lwEndMfmaIndex:27  */
/*  numMfmaForLR:2, barrierMfmaIndex:29 */
/*  mfmaIndex:12  */
_ds_load_u16 v[vgprValuA_X0_I0+0], v[vgprLocalReadAddrA] offset:8192 // L -> Reg lro=4096 swapByteOffset=0 ti=256 vIdx=0 rIdx=0 oIdx=0 buffer=0 iui=0
_ds_load_u16_d16_hi v51, v[vgprLocalReadAddrA] offset:8704 // L -> Reg lro=4096 swapByteOffset=0 ti=256 vIdx=0 rIdx=1 oIdx=0 buffer=0 iui=0
_ds_load_u16 v[vgprValuA_X0_I0+1], v[vgprLocalReadAddrA] offset:9216 // L -> Reg lro=4096 swapByteOffset=0 ti=256 vIdx=0 rIdx=2 oIdx=0 buffer=0 iui=0
_ds_load_u16_d16_hi v52, v[vgprLocalReadAddrA] offset:9728 // L -> Reg lro=4096 swapByteOffset=0 ti=256 vIdx=0 rIdx=3 oIdx=0 buffer=0 iui=0
_ds_load_b64 v[vgprValuB_X0_I0+0:vgprValuB_X0_I0+0+1], v[vgprLocalReadAddrB] offset:32 // L -> Reg lro=16 swapByteOffset=0 ti=128 vIdx=0 rIdx=0 oIdx=0 buffer=0 iui=0
_ds_load_u16 v[vgprValuA_X0_I0+2], v[vgprLocalReadAddrA] offset:8194 // L -> Reg lro=4096 swapByteOffset=0 ti=256 vIdx=0 rIdx=0 oIdx=0 buffer=0 iui=0
s_waitcnt lgkmcnt(6)                               // lgkmcnt=0 vmcnt=-1wait for prior local read local write old=0, new=6 newLW=0 newLR=6
/* pack scheduling: packAIdx:2, packBIdx:0 */
v_or_b32 v[vgprValuA_X1_I0+0], v[vgprValuA_X1_I0+0], v55 // pack two half Vgpr to one Vgpr
v_or_b32 v[vgprValuA_X1_I0+1], v[vgprValuA_X1_I0+1], v56 // pack two half Vgpr to one Vgpr
	;; [unrolled: 1-line block ×4, first 2 shown]
v_mfma_f32_32x32x4f16 a[0+0:31+0], v[vgprValuA_X1_I0+0+0+0:vgprValuA_X1_I0+0+0+0+1], v[vgprValuB_X1_I0+0+0+0:vgprValuB_X1_I0+0+0+0+1], a[0:31]
/*  mfmaIndex:13  */
_ds_load_u16_d16_hi v53, v[vgprLocalReadAddrA] offset:8706 // L -> Reg lro=4096 swapByteOffset=0 ti=256 vIdx=0 rIdx=1 oIdx=0 buffer=0 iui=0
_ds_load_u16 v[vgprValuA_X0_I0+3], v[vgprLocalReadAddrA] offset:9218 // L -> Reg lro=4096 swapByteOffset=0 ti=256 vIdx=0 rIdx=2 oIdx=0 buffer=0 iui=0
_ds_load_u16_d16_hi v54, v[vgprLocalReadAddrA] offset:9730 // L -> Reg lro=4096 swapByteOffset=0 ti=256 vIdx=0 rIdx=3 oIdx=0 buffer=0 iui=0
_ds_load_b64 v[vgprValuB_X0_I0+2:vgprValuB_X0_I0+2+1], v[vgprLocalReadAddrB] offset:96 // L -> Reg lro=16 swapByteOffset=0 ti=128 vIdx=0 rIdx=0 oIdx=0 buffer=0 iui=0
/* localReadsVacancy: latencyLeft 5 */
v_mfma_f32_32x32x4f16 a[32+0:63+0], v[vgprValuA_X1_I0+2+0+0:vgprValuA_X1_I0+2+0+0+1], v[vgprValuB_X1_I0+0+0+0:vgprValuB_X1_I0+0+0+0+1], a[32:63]
/*  mfmaIndex:14  */
/* localReadsVacancy: latencyLeft 13 */
v_mfma_f32_32x32x4f16 a[96+0:127+0], v[vgprValuA_X1_I0+2+0+0:vgprValuA_X1_I0+2+0+0+1], v[vgprValuB_X1_I0+2+0+0:vgprValuB_X1_I0+2+0+0+1], a[96:127]
/*  mfmaIndex:15  */
/* localReadsVacancy: latencyLeft 13 */
v_mfma_f32_32x32x4f16 a[64+0:95+0], v[vgprValuA_X1_I0+0+0+0:vgprValuA_X1_I0+0+0+0+1], v[vgprValuB_X1_I0+2+0+0:vgprValuB_X1_I0+2+0+0+1], a[64:95]
/* numPrefetchIter=0 */
/* dataAtIterA=2 numReadsIterA=4 skipReadsIterA=1 readsPerIterA=8 */
/* dataAtIterB=2 numReadsIterB=4 skipReadsIterB=1 readsPerIterB=2 */


/* iter 4 (last unrolled loop) */

/*  grEndMfmaIndex:0, lwStartMfmaIndex:27, lwEndMfmaIndex:27  */
/*  numMfmaForLR:2, barrierMfmaIndex:29 */
/*  mfmaIndex:16  */
_ds_load_u16 v[vgprValuA_X1_I0+0], v[vgprLocalReadAddrA] offset:10240 // L -> Reg lro=5120 swapByteOffset=0 ti=256 vIdx=0 rIdx=0 oIdx=0 buffer=1 iui=0
_ds_load_u16_d16_hi v55, v[vgprLocalReadAddrA] offset:10752 // L -> Reg lro=5120 swapByteOffset=0 ti=256 vIdx=0 rIdx=1 oIdx=0 buffer=1 iui=0
_ds_load_u16 v[vgprValuA_X1_I0+1], v[vgprLocalReadAddrA] offset:11264 // L -> Reg lro=5120 swapByteOffset=0 ti=256 vIdx=0 rIdx=2 oIdx=0 buffer=1 iui=0
_ds_load_u16_d16_hi v56, v[vgprLocalReadAddrA] offset:11776 // L -> Reg lro=5120 swapByteOffset=0 ti=256 vIdx=0 rIdx=3 oIdx=0 buffer=1 iui=0
_ds_load_b64 v[vgprValuB_X1_I0+0:vgprValuB_X1_I0+0+1], v[vgprLocalReadAddrB] offset:40 // L -> Reg lro=20 swapByteOffset=0 ti=128 vIdx=0 rIdx=0 oIdx=0 buffer=1 iui=0
_ds_load_u16 v[vgprValuA_X1_I0+2], v[vgprLocalReadAddrA] offset:10242 // L -> Reg lro=5120 swapByteOffset=0 ti=256 vIdx=0 rIdx=0 oIdx=0 buffer=1 iui=0
s_waitcnt lgkmcnt(6)                               // lgkmcnt=0 vmcnt=-1wait for prior local read local write old=0, new=6 newLW=0 newLR=6
/* pack scheduling: packAIdx:2, packBIdx:0 */
v_or_b32 v[vgprValuA_X0_I0+0], v[vgprValuA_X0_I0+0], v51 // pack two half Vgpr to one Vgpr
v_or_b32 v[vgprValuA_X0_I0+1], v[vgprValuA_X0_I0+1], v52 // pack two half Vgpr to one Vgpr
	;; [unrolled: 1-line block ×4, first 2 shown]
v_mfma_f32_32x32x4f16 a[0+0:31+0], v[vgprValuA_X0_I0+0+0+0:vgprValuA_X0_I0+0+0+0+1], v[vgprValuB_X0_I0+0+0+0:vgprValuB_X0_I0+0+0+0+1], a[0:31]
/*  mfmaIndex:17  */
_ds_load_u16_d16_hi v57, v[vgprLocalReadAddrA] offset:10754 // L -> Reg lro=5120 swapByteOffset=0 ti=256 vIdx=0 rIdx=1 oIdx=0 buffer=1 iui=0
_ds_load_u16 v[vgprValuA_X1_I0+3], v[vgprLocalReadAddrA] offset:11266 // L -> Reg lro=5120 swapByteOffset=0 ti=256 vIdx=0 rIdx=2 oIdx=0 buffer=1 iui=0
_ds_load_u16_d16_hi v58, v[vgprLocalReadAddrA] offset:11778 // L -> Reg lro=5120 swapByteOffset=0 ti=256 vIdx=0 rIdx=3 oIdx=0 buffer=1 iui=0
_ds_load_b64 v[vgprValuB_X1_I0+2:vgprValuB_X1_I0+2+1], v[vgprLocalReadAddrB] offset:104 // L -> Reg lro=20 swapByteOffset=0 ti=128 vIdx=0 rIdx=0 oIdx=0 buffer=1 iui=0
/* localReadsVacancy: latencyLeft 5 */
v_mfma_f32_32x32x4f16 a[32+0:63+0], v[vgprValuA_X0_I0+2+0+0:vgprValuA_X0_I0+2+0+0+1], v[vgprValuB_X0_I0+0+0+0:vgprValuB_X0_I0+0+0+0+1], a[32:63]
/*  mfmaIndex:18  */
/* localReadsVacancy: latencyLeft 13 */
v_mfma_f32_32x32x4f16 a[96+0:127+0], v[vgprValuA_X0_I0+2+0+0:vgprValuA_X0_I0+2+0+0+1], v[vgprValuB_X0_I0+2+0+0:vgprValuB_X0_I0+2+0+0+1], a[96:127]
/*  mfmaIndex:19  */
/* localReadsVacancy: latencyLeft 13 */
v_mfma_f32_32x32x4f16 a[64+0:95+0], v[vgprValuA_X0_I0+0+0+0:vgprValuA_X0_I0+0+0+0+1], v[vgprValuB_X0_I0+2+0+0:vgprValuB_X0_I0+2+0+0+1], a[64:95]
/* numPrefetchIter=0 */
/* dataAtIterA=3 numReadsIterA=5 skipReadsIterA=1 readsPerIterA=8 */
/* dataAtIterB=3 numReadsIterB=5 skipReadsIterB=1 readsPerIterB=2 */


/* iter 5 (last unrolled loop) */

/*  grEndMfmaIndex:0, lwStartMfmaIndex:27, lwEndMfmaIndex:27  */
/*  numMfmaForLR:2, barrierMfmaIndex:29 */
/*  mfmaIndex:20  */
_ds_load_u16 v[vgprValuA_X0_I0+0], v[vgprLocalReadAddrA] offset:12288 // L -> Reg lro=6144 swapByteOffset=0 ti=256 vIdx=0 rIdx=0 oIdx=0 buffer=0 iui=0
_ds_load_u16_d16_hi v51, v[vgprLocalReadAddrA] offset:12800 // L -> Reg lro=6144 swapByteOffset=0 ti=256 vIdx=0 rIdx=1 oIdx=0 buffer=0 iui=0
_ds_load_u16 v[vgprValuA_X0_I0+1], v[vgprLocalReadAddrA] offset:13312 // L -> Reg lro=6144 swapByteOffset=0 ti=256 vIdx=0 rIdx=2 oIdx=0 buffer=0 iui=0
_ds_load_u16_d16_hi v52, v[vgprLocalReadAddrA] offset:13824 // L -> Reg lro=6144 swapByteOffset=0 ti=256 vIdx=0 rIdx=3 oIdx=0 buffer=0 iui=0
_ds_load_b64 v[vgprValuB_X0_I0+0:vgprValuB_X0_I0+0+1], v[vgprLocalReadAddrB] offset:48 // L -> Reg lro=24 swapByteOffset=0 ti=128 vIdx=0 rIdx=0 oIdx=0 buffer=0 iui=0
_ds_load_u16 v[vgprValuA_X0_I0+2], v[vgprLocalReadAddrA] offset:12290 // L -> Reg lro=6144 swapByteOffset=0 ti=256 vIdx=0 rIdx=0 oIdx=0 buffer=0 iui=0
s_waitcnt lgkmcnt(6)                               // lgkmcnt=0 vmcnt=-1wait for prior local read local write old=0, new=6 newLW=0 newLR=6
/* pack scheduling: packAIdx:2, packBIdx:0 */
v_or_b32 v[vgprValuA_X1_I0+0], v[vgprValuA_X1_I0+0], v55 // pack two half Vgpr to one Vgpr
v_or_b32 v[vgprValuA_X1_I0+1], v[vgprValuA_X1_I0+1], v56 // pack two half Vgpr to one Vgpr
	;; [unrolled: 1-line block ×4, first 2 shown]
v_mfma_f32_32x32x4f16 a[0+0:31+0], v[vgprValuA_X1_I0+0+0+0:vgprValuA_X1_I0+0+0+0+1], v[vgprValuB_X1_I0+0+0+0:vgprValuB_X1_I0+0+0+0+1], a[0:31]
/*  mfmaIndex:21  */
_ds_load_u16_d16_hi v53, v[vgprLocalReadAddrA] offset:12802 // L -> Reg lro=6144 swapByteOffset=0 ti=256 vIdx=0 rIdx=1 oIdx=0 buffer=0 iui=0
_ds_load_u16 v[vgprValuA_X0_I0+3], v[vgprLocalReadAddrA] offset:13314 // L -> Reg lro=6144 swapByteOffset=0 ti=256 vIdx=0 rIdx=2 oIdx=0 buffer=0 iui=0
_ds_load_u16_d16_hi v54, v[vgprLocalReadAddrA] offset:13826 // L -> Reg lro=6144 swapByteOffset=0 ti=256 vIdx=0 rIdx=3 oIdx=0 buffer=0 iui=0
_ds_load_b64 v[vgprValuB_X0_I0+2:vgprValuB_X0_I0+2+1], v[vgprLocalReadAddrB] offset:112 // L -> Reg lro=24 swapByteOffset=0 ti=128 vIdx=0 rIdx=0 oIdx=0 buffer=0 iui=0
/* localReadsVacancy: latencyLeft 5 */
v_mfma_f32_32x32x4f16 a[32+0:63+0], v[vgprValuA_X1_I0+2+0+0:vgprValuA_X1_I0+2+0+0+1], v[vgprValuB_X1_I0+0+0+0:vgprValuB_X1_I0+0+0+0+1], a[32:63]
/*  mfmaIndex:22  */
/* localReadsVacancy: latencyLeft 13 */
v_mfma_f32_32x32x4f16 a[96+0:127+0], v[vgprValuA_X1_I0+2+0+0:vgprValuA_X1_I0+2+0+0+1], v[vgprValuB_X1_I0+2+0+0:vgprValuB_X1_I0+2+0+0+1], a[96:127]
/*  mfmaIndex:23  */
/* localReadsVacancy: latencyLeft 13 */
v_mfma_f32_32x32x4f16 a[64+0:95+0], v[vgprValuA_X1_I0+0+0+0:vgprValuA_X1_I0+0+0+0+1], v[vgprValuB_X1_I0+2+0+0:vgprValuB_X1_I0+2+0+0+1], a[64:95]
/* numPrefetchIter=0 */
/* dataAtIterA=4 numReadsIterA=6 skipReadsIterA=1 readsPerIterA=8 */
/* dataAtIterB=4 numReadsIterB=6 skipReadsIterB=1 readsPerIterB=2 */


/* iter 6 (last unrolled loop) */

/*  grEndMfmaIndex:0, lwStartMfmaIndex:27, lwEndMfmaIndex:27  */
/*  numMfmaForLR:2, barrierMfmaIndex:29 */
/*  mfmaIndex:24  */
_ds_load_u16 v[vgprValuA_X1_I0+0], v[vgprLocalReadAddrA] offset:14336 // L -> Reg lro=7168 swapByteOffset=0 ti=256 vIdx=0 rIdx=0 oIdx=0 buffer=1 iui=0
_ds_load_u16_d16_hi v55, v[vgprLocalReadAddrA] offset:14848 // L -> Reg lro=7168 swapByteOffset=0 ti=256 vIdx=0 rIdx=1 oIdx=0 buffer=1 iui=0
_ds_load_u16 v[vgprValuA_X1_I0+1], v[vgprLocalReadAddrA] offset:15360 // L -> Reg lro=7168 swapByteOffset=0 ti=256 vIdx=0 rIdx=2 oIdx=0 buffer=1 iui=0
_ds_load_u16_d16_hi v56, v[vgprLocalReadAddrA] offset:15872 // L -> Reg lro=7168 swapByteOffset=0 ti=256 vIdx=0 rIdx=3 oIdx=0 buffer=1 iui=0
_ds_load_b64 v[vgprValuB_X1_I0+0:vgprValuB_X1_I0+0+1], v[vgprLocalReadAddrB] offset:56 // L -> Reg lro=28 swapByteOffset=0 ti=128 vIdx=0 rIdx=0 oIdx=0 buffer=1 iui=0
_ds_load_u16 v[vgprValuA_X1_I0+2], v[vgprLocalReadAddrA] offset:14338 // L -> Reg lro=7168 swapByteOffset=0 ti=256 vIdx=0 rIdx=0 oIdx=0 buffer=1 iui=0
s_waitcnt lgkmcnt(6)                               // lgkmcnt=0 vmcnt=-1wait for prior local read local write old=0, new=6 newLW=0 newLR=6
/* pack scheduling: packAIdx:2, packBIdx:0 */
v_or_b32 v[vgprValuA_X0_I0+0], v[vgprValuA_X0_I0+0], v51 // pack two half Vgpr to one Vgpr
v_or_b32 v[vgprValuA_X0_I0+1], v[vgprValuA_X0_I0+1], v52 // pack two half Vgpr to one Vgpr
	;; [unrolled: 1-line block ×4, first 2 shown]
v_mfma_f32_32x32x4f16 a[0+0:31+0], v[vgprValuA_X0_I0+0+0+0:vgprValuA_X0_I0+0+0+0+1], v[vgprValuB_X0_I0+0+0+0:vgprValuB_X0_I0+0+0+0+1], a[0:31]
/*  mfmaIndex:25  */
_ds_load_u16_d16_hi v57, v[vgprLocalReadAddrA] offset:14850 // L -> Reg lro=7168 swapByteOffset=0 ti=256 vIdx=0 rIdx=1 oIdx=0 buffer=1 iui=0
_ds_load_u16 v[vgprValuA_X1_I0+3], v[vgprLocalReadAddrA] offset:15362 // L -> Reg lro=7168 swapByteOffset=0 ti=256 vIdx=0 rIdx=2 oIdx=0 buffer=1 iui=0
_ds_load_u16_d16_hi v58, v[vgprLocalReadAddrA] offset:15874 // L -> Reg lro=7168 swapByteOffset=0 ti=256 vIdx=0 rIdx=3 oIdx=0 buffer=1 iui=0
_ds_load_b64 v[vgprValuB_X1_I0+2:vgprValuB_X1_I0+2+1], v[vgprLocalReadAddrB] offset:120 // L -> Reg lro=28 swapByteOffset=0 ti=128 vIdx=0 rIdx=0 oIdx=0 buffer=1 iui=0
/* localReadsVacancy: latencyLeft 5 */
v_mfma_f32_32x32x4f16 a[32+0:63+0], v[vgprValuA_X0_I0+2+0+0:vgprValuA_X0_I0+2+0+0+1], v[vgprValuB_X0_I0+0+0+0:vgprValuB_X0_I0+0+0+0+1], a[32:63]
/*  mfmaIndex:26  */
/* localReadsVacancy: latencyLeft 13 */
v_mfma_f32_32x32x4f16 a[96+0:127+0], v[vgprValuA_X0_I0+2+0+0:vgprValuA_X0_I0+2+0+0+1], v[vgprValuB_X0_I0+2+0+0:vgprValuB_X0_I0+2+0+0+1], a[96:127]
/*  mfmaIndex:27  */
/* localReadsVacancy: latencyLeft 13 */
v_mfma_f32_32x32x4f16 a[64+0:95+0], v[vgprValuA_X0_I0+0+0+0:vgprValuA_X0_I0+0+0+0+1], v[vgprValuB_X0_I0+2+0+0:vgprValuB_X0_I0+2+0+0+1], a[64:95]
/* numPrefetchIter=0 */
/* dataAtIterA=5 numReadsIterA=7 skipReadsIterA=1 readsPerIterA=8 */
/* dataAtIterB=5 numReadsIterB=7 skipReadsIterB=1 readsPerIterB=2 */


/* iter 7 (last unrolled loop) */

/*  grEndMfmaIndex:0, lwStartMfmaIndex:27, lwEndMfmaIndex:27  */
/*  numMfmaForLR:2, barrierMfmaIndex:29 */
/*  mfmaIndex:28  */
s_waitcnt lgkmcnt(0)                               // lgkmcnt=0 vmcnt=-1wait for prior local read local write old=0, new=0 newLW=0 newLR=0
/* pack scheduling: packAIdx:2, packBIdx:0 */
v_or_b32 v[vgprValuA_X1_I0+0], v[vgprValuA_X1_I0+0], v55 // pack two half Vgpr to one Vgpr
v_or_b32 v[vgprValuA_X1_I0+1], v[vgprValuA_X1_I0+1], v56 // pack two half Vgpr to one Vgpr
	;; [unrolled: 1-line block ×4, first 2 shown]
v_mfma_f32_32x32x4f16 a[0+0:31+0], v[vgprValuA_X1_I0+0+0+0:vgprValuA_X1_I0+0+0+0+1], v[vgprValuB_X1_I0+0+0+0:vgprValuB_X1_I0+0+0+0+1], a[0:31]
/*  mfmaIndex:29  */
v_mfma_f32_32x32x4f16 a[32+0:63+0], v[vgprValuA_X1_I0+2+0+0:vgprValuA_X1_I0+2+0+0+1], v[vgprValuB_X1_I0+0+0+0:vgprValuB_X1_I0+0+0+0+1], a[32:63]
/*  mfmaIndex:30  */
	;; [unrolled: 2-line block ×3, first 2 shown]
v_mfma_f32_32x32x4f16 a[64+0:95+0], v[vgprValuA_X1_I0+0+0+0:vgprValuA_X1_I0+0+0+0+1], v[vgprValuB_X1_I0+2+0+0:vgprValuB_X1_I0+2+0+0+1], a[64:95]
/* numPrefetchIter=0 */
/* dataAtIterA=6 numReadsIterA=7 skipReadsIterA=0 readsPerIterA=8 */
/* dataAtIterB=6 numReadsIterB=7 skipReadsIterB=0 readsPerIterB=2 */

/* Stores for OptNLL */
Summation_End_OptNLL_16:
/* endSummation: add vgpr [0...48) to pool */
.set NumFullBlocks, UNDEF
.set WgmRemainder1, UNDEF
.set MagicNumberWgmRemainder1, UNDEF

/* Mapping of Acc register -> C Vgpr register */
/* computeStoreVgprs */
v_lshrrev_b32 v4, 6, v[vgprSerial]                 // v4 = v[vgprSerial] / 64
v_lshrrev_b32 v1, 1, v4                            // v1 = v4 / 2
v_mul_lo_u32 v1, 0x20, v1                          // wave coordination offset 1
v_and_b32 v5, 31, v[vgprSerial]                    // v5 = v[vgprSerial] % 32
_v_add_lshl_u32 v1, v5, v1, 1                      // coordination 1 = vwb *(wave_id1 + tid1)
v_mul_lo_u32 v2, v1, s[sgprStrideC1J]              //  offset 1
v_mul_lo_u32 v3, v1, s[sgprStrideD1J]              //  offset 1
v_and_b32 v0, 63, v[vgprSerial]                    // v0 = v[vgprSerial] % 64
v_lshrrev_b32 v0, 5, v0                            // v0 = v0 / 32
v_lshlrev_b32 v0, 0x2, v0                          // thread0 * continuous_output
v_and_b32 v5, 1, v4                                // v5 = v4 % 2
v_mul_lo_u32 v5, 0x40, v5                          // wave coordination offset 0
_v_add_lshl_u32 v0, v5, v0, 1                      // coordination 0 = vwa *(wave_id0 + tid0)
s_mul_i32 s31, 256, s[sgprWorkGroup0]              // wgp0 * MT0
_v_add_u32 v0, s31, v0                             // coord 0 = (tid0/MI_m)*4 + waveG0*MIB_m + MT0*SG0
s_mul_i32 s31, 128, s[sgprWorkGroup1]              // wgp1 * MT1
_v_add_u32 v1, s31, v1                             // coord 1 = (tid0%MI_m) + waveG1*MIB_n + MT1*SG1
GW_B0_E0_19:

/* edge=0, allocate 2 sgpr. perBatchTmpS=2 perBatchMaskS=0 perElementMaskS=0 elementsPerBatch=60 */
/* optSingleColVgpr=1 optSharedColVgpr=0 optSGPRUsage=BufferLoad_Mask optSrdIncForRow=1 */

/******************************************/
/* Global Write Batch #0 (d1,d0,vc1,vc0) = */
/*    (0,0,0,0:vw4); (0,0,0,4:vw4); (0,1,0,0:vw4); (0,1,0,4:vw4); (0,2,0,0:vw4); (0,2,0,4:vw4); (0,3,0,0:vw4); (0,3,0,4:vw4); (0,4,0,0:vw4); (0,4,0,4:vw4); (0,5,0,0:vw4); (0,5,0,4:vw4); (0,6,0,0:vw4); (0,6,0,4:vw4); (0,7,0,0:vw4); (0,7,0,4:vw4); (0,0,1,0:vw4); (0,0,1,4:vw4); (0,1,1,0:vw4); (0,1,1,4:vw4); (0,2,1,0:vw4); (0,2,1,4:vw4); (0,3,1,0:vw4); (0,3,1,4:vw4); (0,4,1,0:vw4); (0,4,1,4:vw4); (0,5,1,0:vw4); (0,5,1,4:vw4); (0,6,1,0:vw4); (0,6,1,4:vw4); (0,7,1,0:vw4); (0,7,1,4:vw4) */
/******************************************/

/* calc coords, apply mask, and issue loads (if necessary) */
/* (d1,vc1,d0,vc0)=(0,0,0,0) */
/* (d1,vc1,d0,vc0)=(0,0,0,4) */
	;; [unrolled: 1-line block ×32, first 2 shown]
_v_add_lshl_u32 v6, v3, v0, 0x2                    // optSingleColVgpr scaleToBpe: sharedAddrVgpr <- cinRowPtr + coord0, scaled by BPE. BSHERE:coord0=0, coord0Vgpr=0
v_accvgpr_read_b32 v[vgprValuC+8], acc0 // copy acc to vreg[0]
v_accvgpr_read_b32 v[vgprValuC+9], acc32 // copy acc to vreg[1]
v_accvgpr_read_b32 v[vgprValuC+10], acc1 // copy acc to vreg[2]
v_accvgpr_read_b32 v[vgprValuC+11], acc33 // copy acc to vreg[3]
v_accvgpr_read_b32 v[vgprValuC+12], acc2 // copy acc to vreg[4]
v_accvgpr_read_b32 v[vgprValuC+13], acc34 // copy acc to vreg[5]
v_accvgpr_read_b32 v[vgprValuC+14], acc3 // copy acc to vreg[6]
v_accvgpr_read_b32 v[vgprValuC+15], acc35 // copy acc to vreg[7]
v_accvgpr_read_b32 v[vgprValuC+16], acc4 // copy acc to vreg[8]
v_accvgpr_read_b32 v[vgprValuC+17], acc36 // copy acc to vreg[9]
v_accvgpr_read_b32 v[vgprValuC+18], acc5 // copy acc to vreg[10]
v_accvgpr_read_b32 v[vgprValuC+19], acc37 // copy acc to vreg[11]
v_accvgpr_read_b32 v[vgprValuC+20], acc6 // copy acc to vreg[12]
v_accvgpr_read_b32 v[vgprValuC+21], acc38 // copy acc to vreg[13]
v_accvgpr_read_b32 v[vgprValuC+22], acc7 // copy acc to vreg[14]
v_accvgpr_read_b32 v[vgprValuC+23], acc39 // copy acc to vreg[15]
v_accvgpr_read_b32 v[vgprValuC+24], acc8 // copy acc to vreg[16]
v_accvgpr_read_b32 v[vgprValuC+25], acc40 // copy acc to vreg[17]
v_accvgpr_read_b32 v[vgprValuC+26], acc9 // copy acc to vreg[18]
v_accvgpr_read_b32 v[vgprValuC+27], acc41 // copy acc to vreg[19]
v_accvgpr_read_b32 v[vgprValuC+28], acc10 // copy acc to vreg[20]
v_accvgpr_read_b32 v[vgprValuC+29], acc42 // copy acc to vreg[21]
v_accvgpr_read_b32 v[vgprValuC+30], acc11 // copy acc to vreg[22]
v_accvgpr_read_b32 v[vgprValuC+31], acc43 // copy acc to vreg[23]
v_accvgpr_read_b32 v[vgprValuC+32], acc12 // copy acc to vreg[24]
v_accvgpr_read_b32 v[vgprValuC+33], acc44 // copy acc to vreg[25]
v_accvgpr_read_b32 v[vgprValuC+34], acc13 // copy acc to vreg[26]
v_accvgpr_read_b32 v[vgprValuC+35], acc45 // copy acc to vreg[27]
v_accvgpr_read_b32 v[vgprValuC+36], acc14 // copy acc to vreg[28]
v_accvgpr_read_b32 v[vgprValuC+37], acc46 // copy acc to vreg[29]
v_accvgpr_read_b32 v[vgprValuC+38], acc15 // copy acc to vreg[30]
v_accvgpr_read_b32 v[vgprValuC+39], acc47 // copy acc to vreg[31]
v_accvgpr_read_b32 v[vgprValuC+40], acc16 // copy acc to vreg[32]
v_accvgpr_read_b32 v[vgprValuC+41], acc48 // copy acc to vreg[33]
v_accvgpr_read_b32 v[vgprValuC+42], acc17 // copy acc to vreg[34]
v_accvgpr_read_b32 v[vgprValuC+43], acc49 // copy acc to vreg[35]
v_accvgpr_read_b32 v[vgprValuC+44], acc18 // copy acc to vreg[36]
v_accvgpr_read_b32 v[vgprValuC+45], acc50 // copy acc to vreg[37]
v_accvgpr_read_b32 v[vgprValuC+46], acc19 // copy acc to vreg[38]
v_accvgpr_read_b32 v[vgprValuC+47], acc51 // copy acc to vreg[39]
v_accvgpr_read_b32 v[vgprValuC+52], acc20 // copy acc to vreg[40]
v_accvgpr_read_b32 v[vgprValuC+53], acc52 // copy acc to vreg[41]
v_accvgpr_read_b32 v[vgprValuC+54], acc21 // copy acc to vreg[42]
v_accvgpr_read_b32 v[vgprValuC+55], acc53 // copy acc to vreg[43]
v_accvgpr_read_b32 v[vgprValuC+56], acc22 // copy acc to vreg[44]
v_accvgpr_read_b32 v[vgprValuC+57], acc54 // copy acc to vreg[45]
v_accvgpr_read_b32 v[vgprValuC+58], acc23 // copy acc to vreg[46]
v_accvgpr_read_b32 v[vgprValuC+59], acc55 // copy acc to vreg[47]
v_accvgpr_read_b32 v[vgprValuC+60], acc24 // copy acc to vreg[48]
v_accvgpr_read_b32 v[vgprValuC+61], acc56 // copy acc to vreg[49]
v_accvgpr_read_b32 v[vgprValuC+62], acc25 // copy acc to vreg[50]
v_accvgpr_read_b32 v[vgprValuC+63], acc57 // copy acc to vreg[51]
v_accvgpr_read_b32 v[vgprValuC+64], acc26 // copy acc to vreg[52]
v_accvgpr_read_b32 v[vgprValuC+65], acc58 // copy acc to vreg[53]
v_accvgpr_read_b32 v[vgprValuC+66], acc27 // copy acc to vreg[54]
v_accvgpr_read_b32 v[vgprValuC+67], acc59 // copy acc to vreg[55]
v_accvgpr_read_b32 v[vgprValuC+68], acc28 // copy acc to vreg[56]
v_accvgpr_read_b32 v[vgprValuC+69], acc60 // copy acc to vreg[57]
v_accvgpr_read_b32 v[vgprValuC+70], acc29 // copy acc to vreg[58]
v_accvgpr_read_b32 v[vgprValuC+71], acc61 // copy acc to vreg[59]
v_accvgpr_read_b32 v[vgprValuC+72], acc30 // copy acc to vreg[60]
v_accvgpr_read_b32 v[vgprValuC+73], acc62 // copy acc to vreg[61]
v_accvgpr_read_b32 v[vgprValuC+74], acc31 // copy acc to vreg[62]
v_accvgpr_read_b32 v[vgprValuC+75], acc63 // copy acc to vreg[63]
v_accvgpr_read_b32 v[vgprValuC+76], acc64 // copy acc to vreg[64]
v_accvgpr_read_b32 v[vgprValuC+77], acc96 // copy acc to vreg[65]
v_accvgpr_read_b32 v[vgprValuC+78], acc65 // copy acc to vreg[66]
v_accvgpr_read_b32 v[vgprValuC+79], acc97 // copy acc to vreg[67]
v_accvgpr_read_b32 v[vgprValuC+80], acc66 // copy acc to vreg[68]
v_accvgpr_read_b32 v[vgprValuC+81], acc98 // copy acc to vreg[69]
v_accvgpr_read_b32 v[vgprValuC+82], acc67 // copy acc to vreg[70]
v_accvgpr_read_b32 v[vgprValuC+83], acc99 // copy acc to vreg[71]
v_accvgpr_read_b32 v[vgprValuC+84], acc68 // copy acc to vreg[72]
v_accvgpr_read_b32 v[vgprValuC+85], acc100 // copy acc to vreg[73]
v_accvgpr_read_b32 v[vgprValuC+86], acc69 // copy acc to vreg[74]
v_accvgpr_read_b32 v[vgprValuC+87], acc101 // copy acc to vreg[75]
v_accvgpr_read_b32 v[vgprValuC+88], acc70 // copy acc to vreg[76]
v_accvgpr_read_b32 v[vgprValuC+89], acc102 // copy acc to vreg[77]
v_accvgpr_read_b32 v[vgprValuC+90], acc71 // copy acc to vreg[78]
v_accvgpr_read_b32 v[vgprValuC+91], acc103 // copy acc to vreg[79]
v_accvgpr_read_b32 v[vgprValuC+92], acc72 // copy acc to vreg[80]
v_accvgpr_read_b32 v[vgprValuC+93], acc104 // copy acc to vreg[81]
v_accvgpr_read_b32 v[vgprValuC+94], acc73 // copy acc to vreg[82]
v_accvgpr_read_b32 v[vgprValuC+95], acc105 // copy acc to vreg[83]
v_accvgpr_read_b32 v[vgprValuC+96], acc74 // copy acc to vreg[84]
v_accvgpr_read_b32 v[vgprValuC+97], acc106 // copy acc to vreg[85]
v_accvgpr_read_b32 v[vgprValuC+98], acc75 // copy acc to vreg[86]
v_accvgpr_read_b32 v[vgprValuC+99], acc107 // copy acc to vreg[87]
v_accvgpr_read_b32 v[vgprValuC+100], acc76 // copy acc to vreg[88]
v_accvgpr_read_b32 v[vgprValuC+101], acc108 // copy acc to vreg[89]
v_accvgpr_read_b32 v[vgprValuC+102], acc77 // copy acc to vreg[90]
v_accvgpr_read_b32 v[vgprValuC+103], acc109 // copy acc to vreg[91]
v_accvgpr_read_b32 v[vgprValuC+104], acc78 // copy acc to vreg[92]
v_accvgpr_read_b32 v[vgprValuC+105], acc110 // copy acc to vreg[93]
v_accvgpr_read_b32 v[vgprValuC+106], acc79 // copy acc to vreg[94]
v_accvgpr_read_b32 v[vgprValuC+107], acc111 // copy acc to vreg[95]
v_accvgpr_read_b32 v[vgprValuC+108], acc80 // copy acc to vreg[96]
v_accvgpr_read_b32 v[vgprValuC+109], acc112 // copy acc to vreg[97]
v_accvgpr_read_b32 v[vgprValuC+110], acc81 // copy acc to vreg[98]
v_accvgpr_read_b32 v[vgprValuC+111], acc113 // copy acc to vreg[99]
v_accvgpr_read_b32 v[vgprValuC+112], acc82 // copy acc to vreg[100]
v_accvgpr_read_b32 v[vgprValuC+113], acc114 // copy acc to vreg[101]
v_accvgpr_read_b32 v[vgprValuC+114], acc83 // copy acc to vreg[102]
v_accvgpr_read_b32 v[vgprValuC+115], acc115 // copy acc to vreg[103]
v_accvgpr_read_b32 v[vgprValuC+116], acc84 // copy acc to vreg[104]
v_accvgpr_read_b32 v[vgprValuC+117], acc116 // copy acc to vreg[105]
v_accvgpr_read_b32 v[vgprValuC+118], acc85 // copy acc to vreg[106]
v_accvgpr_read_b32 v[vgprValuC+119], acc117 // copy acc to vreg[107]
v_accvgpr_read_b32 v[vgprValuC+120], acc86 // copy acc to vreg[108]
v_accvgpr_read_b32 v[vgprValuC+121], acc118 // copy acc to vreg[109]
v_accvgpr_read_b32 v[vgprValuC+122], acc87 // copy acc to vreg[110]
v_accvgpr_read_b32 v[vgprValuC+123], acc119 // copy acc to vreg[111]
v_accvgpr_read_b32 v[vgprValuC+124], acc88 // copy acc to vreg[112]
v_accvgpr_read_b32 v[vgprValuC+125], acc120 // copy acc to vreg[113]
v_accvgpr_read_b32 v[vgprValuC+126], acc89 // copy acc to vreg[114]
v_accvgpr_read_b32 v[vgprValuC+127], acc121 // copy acc to vreg[115]
v_accvgpr_read_b32 v[vgprValuC+128], acc90 // copy acc to vreg[116]
v_accvgpr_read_b32 v[vgprValuC+129], acc122 // copy acc to vreg[117]
v_accvgpr_read_b32 v[vgprValuC+130], acc91 // copy acc to vreg[118]
v_accvgpr_read_b32 v[vgprValuC+131], acc123 // copy acc to vreg[119]
v_accvgpr_read_b32 v[vgprValuC+132], acc92 // copy acc to vreg[120]
v_accvgpr_read_b32 v[vgprValuC+133], acc124 // copy acc to vreg[121]
v_accvgpr_read_b32 v[vgprValuC+134], acc93 // copy acc to vreg[122]
v_accvgpr_read_b32 v[vgprValuC+135], acc125 // copy acc to vreg[123]
v_accvgpr_read_b32 v[vgprValuC+136], acc94 // copy acc to vreg[124]
v_accvgpr_read_b32 v[vgprValuC+137], acc126 // copy acc to vreg[125]
v_accvgpr_read_b32 v[vgprValuC+138], acc95 // copy acc to vreg[126]
v_accvgpr_read_b32 v[vgprValuC+139], acc127 // copy acc to vreg[127]
s_nop 1                                            // 2 wait states required before reading vgpr

/* apply mask, calc new C and issue writes */
_buffer_store_b128 v[8:11], v6, s[sgprSrdD:sgprSrdD+3], 0, offen, offset:0 // store D
_buffer_store_b128 v[12:15], v6, s[sgprSrdD:sgprSrdD+3], 0, offen, offset:16 // store D
	;; [unrolled: 1-line block ×16, first 2 shown]
s_lshl_b32  s32, s[sgprStrideD1J], 2               // incToNextRow: Scale by BPE
s_add_u32  s[sgprSrdD+0], s[sgprSrdD+0], s32       // incToNextRow: gra SRD += inc(lower)
s_addc_u32  s[sgprSrdD+1], s[sgprSrdD+1], 0        // incToNextRow: gra SRD += inc(upper)
_buffer_store_b128 v[76:79], v6, s[sgprSrdD:sgprSrdD+3], 0, offen, offset:0 // store D
_buffer_store_b128 v[80:83], v6, s[sgprSrdD:sgprSrdD+3], 0, offen, offset:16 // store D
	;; [unrolled: 1-line block ×16, first 2 shown]
s_nop 0                                            // 1 wait state required when next inst writes vgprs held by previous dwordx4 store inst
s_branch label_GW_End_21                           // jump to end
label_GW_End_21:

s_endpgm                                           // Kernel End
OptNLL_End_15:


/******************************************/
/* Ord. NoLoadLoop - Begin                                      */
/******************************************/




/* iter 0 (last unrolled loop) */

/*  grEndMfmaIndex:0, lwStartMfmaIndex:27, lwEndMfmaIndex:27  */
/*  numMfmaForLR:2, barrierMfmaIndex:29 */
/*  mfmaIndex:0  */
s_waitcnt lgkmcnt(0)                               // lgkmcnt=0 vmcnt=-1wait for prior local read local write old=0, new=0 newLW=0 newLR=0
/* pack scheduling: packAIdx:2, packBIdx:0 */
v_or_b32 v[vgprValuA_X0_I0+0], v[vgprValuA_X0_I0+0], v51 // pack two half Vgpr to one Vgpr
v_or_b32 v[vgprValuA_X0_I0+1], v[vgprValuA_X0_I0+1], v52 // pack two half Vgpr to one Vgpr
	;; [unrolled: 1-line block ×4, first 2 shown]
v_mfma_f32_32x32x4f16 a[0+0:31+0], v[vgprValuA_X0_I0+0+0+0:vgprValuA_X0_I0+0+0+0+1], v[vgprValuB_X0_I0+0+0+0:vgprValuB_X0_I0+0+0+0+1], a[0:31]
/*  mfmaIndex:1  */
_ds_load_u16 v[vgprValuA_X1_I0+0], v[vgprLocalReadAddrA] offset:2048 // L -> Reg lro=1024 swapByteOffset=0 ti=256 vIdx=0 rIdx=0 oIdx=0 buffer=1 iui=0
_ds_load_u16_d16_hi v55, v[vgprLocalReadAddrA] offset:2560 // L -> Reg lro=1024 swapByteOffset=0 ti=256 vIdx=0 rIdx=1 oIdx=0 buffer=1 iui=0
_ds_load_u16 v[vgprValuA_X1_I0+1], v[vgprLocalReadAddrA] offset:3072 // L -> Reg lro=1024 swapByteOffset=0 ti=256 vIdx=0 rIdx=2 oIdx=0 buffer=1 iui=0
_ds_load_u16_d16_hi v56, v[vgprLocalReadAddrA] offset:3584 // L -> Reg lro=1024 swapByteOffset=0 ti=256 vIdx=0 rIdx=3 oIdx=0 buffer=1 iui=0
_ds_load_b64 v[vgprValuB_X1_I0+0:vgprValuB_X1_I0+0+1], v[vgprLocalReadAddrB] offset:8 // L -> Reg lro=4 swapByteOffset=0 ti=128 vIdx=0 rIdx=0 oIdx=0 buffer=1 iui=0
_ds_load_u16 v[vgprValuA_X1_I0+2], v[vgprLocalReadAddrA] offset:2050 // L -> Reg lro=1024 swapByteOffset=0 ti=256 vIdx=0 rIdx=0 oIdx=0 buffer=1 iui=0
v_mfma_f32_32x32x4f16 a[32+0:63+0], v[vgprValuA_X0_I0+2+0+0:vgprValuA_X0_I0+2+0+0+1], v[vgprValuB_X0_I0+0+0+0:vgprValuB_X0_I0+0+0+0+1], a[32:63]
/*  mfmaIndex:2  */
_ds_load_u16_d16_hi v57, v[vgprLocalReadAddrA] offset:2562 // L -> Reg lro=1024 swapByteOffset=0 ti=256 vIdx=0 rIdx=1 oIdx=0 buffer=1 iui=0
_ds_load_u16 v[vgprValuA_X1_I0+3], v[vgprLocalReadAddrA] offset:3074 // L -> Reg lro=1024 swapByteOffset=0 ti=256 vIdx=0 rIdx=2 oIdx=0 buffer=1 iui=0
_ds_load_u16_d16_hi v58, v[vgprLocalReadAddrA] offset:3586 // L -> Reg lro=1024 swapByteOffset=0 ti=256 vIdx=0 rIdx=3 oIdx=0 buffer=1 iui=0
_ds_load_b64 v[vgprValuB_X1_I0+2:vgprValuB_X1_I0+2+1], v[vgprLocalReadAddrB] offset:72 // L -> Reg lro=4 swapByteOffset=0 ti=128 vIdx=0 rIdx=0 oIdx=0 buffer=1 iui=0
/* localReadsVacancy: latencyLeft 5 */
v_mfma_f32_32x32x4f16 a[96+0:127+0], v[vgprValuA_X0_I0+2+0+0:vgprValuA_X0_I0+2+0+0+1], v[vgprValuB_X0_I0+2+0+0:vgprValuB_X0_I0+2+0+0+1], a[96:127]
/*  mfmaIndex:3  */
/* localReadsVacancy: latencyLeft 13 */
v_mfma_f32_32x32x4f16 a[64+0:95+0], v[vgprValuA_X0_I0+0+0+0:vgprValuA_X0_I0+0+0+0+1], v[vgprValuB_X0_I0+2+0+0:vgprValuB_X0_I0+2+0+0+1], a[64:95]
/* numPrefetchIter=0 */
/* dataAtIterA=-1 numReadsIterA=1 skipReadsIterA=1 readsPerIterA=8 */
/* dataAtIterB=-1 numReadsIterB=1 skipReadsIterB=1 readsPerIterB=2 */


/* iter 1 (last unrolled loop) */

/*  grEndMfmaIndex:0, lwStartMfmaIndex:27, lwEndMfmaIndex:27  */
/*  numMfmaForLR:2, barrierMfmaIndex:29 */
/*  mfmaIndex:4  */
_ds_load_u16 v[vgprValuA_X0_I0+0], v[vgprLocalReadAddrA] offset:4096 // L -> Reg lro=2048 swapByteOffset=0 ti=256 vIdx=0 rIdx=0 oIdx=0 buffer=0 iui=0
_ds_load_u16_d16_hi v51, v[vgprLocalReadAddrA] offset:4608 // L -> Reg lro=2048 swapByteOffset=0 ti=256 vIdx=0 rIdx=1 oIdx=0 buffer=0 iui=0
_ds_load_u16 v[vgprValuA_X0_I0+1], v[vgprLocalReadAddrA] offset:5120 // L -> Reg lro=2048 swapByteOffset=0 ti=256 vIdx=0 rIdx=2 oIdx=0 buffer=0 iui=0
_ds_load_u16_d16_hi v52, v[vgprLocalReadAddrA] offset:5632 // L -> Reg lro=2048 swapByteOffset=0 ti=256 vIdx=0 rIdx=3 oIdx=0 buffer=0 iui=0
_ds_load_b64 v[vgprValuB_X0_I0+0:vgprValuB_X0_I0+0+1], v[vgprLocalReadAddrB] offset:16 // L -> Reg lro=8 swapByteOffset=0 ti=128 vIdx=0 rIdx=0 oIdx=0 buffer=0 iui=0
_ds_load_u16 v[vgprValuA_X0_I0+2], v[vgprLocalReadAddrA] offset:4098 // L -> Reg lro=2048 swapByteOffset=0 ti=256 vIdx=0 rIdx=0 oIdx=0 buffer=0 iui=0
s_waitcnt lgkmcnt(6)                               // lgkmcnt=0 vmcnt=-1wait for prior local read local write old=0, new=6 newLW=0 newLR=6
/* pack scheduling: packAIdx:2, packBIdx:0 */
v_or_b32 v[vgprValuA_X1_I0+0], v[vgprValuA_X1_I0+0], v55 // pack two half Vgpr to one Vgpr
v_or_b32 v[vgprValuA_X1_I0+1], v[vgprValuA_X1_I0+1], v56 // pack two half Vgpr to one Vgpr
	;; [unrolled: 1-line block ×4, first 2 shown]
v_mfma_f32_32x32x4f16 a[0+0:31+0], v[vgprValuA_X1_I0+0+0+0:vgprValuA_X1_I0+0+0+0+1], v[vgprValuB_X1_I0+0+0+0:vgprValuB_X1_I0+0+0+0+1], a[0:31]
/*  mfmaIndex:5  */
_ds_load_u16_d16_hi v53, v[vgprLocalReadAddrA] offset:4610 // L -> Reg lro=2048 swapByteOffset=0 ti=256 vIdx=0 rIdx=1 oIdx=0 buffer=0 iui=0
_ds_load_u16 v[vgprValuA_X0_I0+3], v[vgprLocalReadAddrA] offset:5122 // L -> Reg lro=2048 swapByteOffset=0 ti=256 vIdx=0 rIdx=2 oIdx=0 buffer=0 iui=0
_ds_load_u16_d16_hi v54, v[vgprLocalReadAddrA] offset:5634 // L -> Reg lro=2048 swapByteOffset=0 ti=256 vIdx=0 rIdx=3 oIdx=0 buffer=0 iui=0
_ds_load_b64 v[vgprValuB_X0_I0+2:vgprValuB_X0_I0+2+1], v[vgprLocalReadAddrB] offset:80 // L -> Reg lro=8 swapByteOffset=0 ti=128 vIdx=0 rIdx=0 oIdx=0 buffer=0 iui=0
/* localReadsVacancy: latencyLeft 5 */
v_mfma_f32_32x32x4f16 a[32+0:63+0], v[vgprValuA_X1_I0+2+0+0:vgprValuA_X1_I0+2+0+0+1], v[vgprValuB_X1_I0+0+0+0:vgprValuB_X1_I0+0+0+0+1], a[32:63]
/*  mfmaIndex:6  */
/* localReadsVacancy: latencyLeft 13 */
v_mfma_f32_32x32x4f16 a[96+0:127+0], v[vgprValuA_X1_I0+2+0+0:vgprValuA_X1_I0+2+0+0+1], v[vgprValuB_X1_I0+2+0+0:vgprValuB_X1_I0+2+0+0+1], a[96:127]
/*  mfmaIndex:7  */
/* localReadsVacancy: latencyLeft 13 */
v_mfma_f32_32x32x4f16 a[64+0:95+0], v[vgprValuA_X1_I0+0+0+0:vgprValuA_X1_I0+0+0+0+1], v[vgprValuB_X1_I0+2+0+0:vgprValuB_X1_I0+2+0+0+1], a[64:95]
/* numPrefetchIter=0 */
/* dataAtIterA=0 numReadsIterA=2 skipReadsIterA=1 readsPerIterA=8 */
/* dataAtIterB=0 numReadsIterB=2 skipReadsIterB=1 readsPerIterB=2 */


/* iter 2 (last unrolled loop) */

/*  grEndMfmaIndex:0, lwStartMfmaIndex:27, lwEndMfmaIndex:27  */
/*  numMfmaForLR:2, barrierMfmaIndex:29 */
/*  mfmaIndex:8  */
_ds_load_u16 v[vgprValuA_X1_I0+0], v[vgprLocalReadAddrA] offset:6144 // L -> Reg lro=3072 swapByteOffset=0 ti=256 vIdx=0 rIdx=0 oIdx=0 buffer=1 iui=0
_ds_load_u16_d16_hi v55, v[vgprLocalReadAddrA] offset:6656 // L -> Reg lro=3072 swapByteOffset=0 ti=256 vIdx=0 rIdx=1 oIdx=0 buffer=1 iui=0
_ds_load_u16 v[vgprValuA_X1_I0+1], v[vgprLocalReadAddrA] offset:7168 // L -> Reg lro=3072 swapByteOffset=0 ti=256 vIdx=0 rIdx=2 oIdx=0 buffer=1 iui=0
_ds_load_u16_d16_hi v56, v[vgprLocalReadAddrA] offset:7680 // L -> Reg lro=3072 swapByteOffset=0 ti=256 vIdx=0 rIdx=3 oIdx=0 buffer=1 iui=0
_ds_load_b64 v[vgprValuB_X1_I0+0:vgprValuB_X1_I0+0+1], v[vgprLocalReadAddrB] offset:24 // L -> Reg lro=12 swapByteOffset=0 ti=128 vIdx=0 rIdx=0 oIdx=0 buffer=1 iui=0
_ds_load_u16 v[vgprValuA_X1_I0+2], v[vgprLocalReadAddrA] offset:6146 // L -> Reg lro=3072 swapByteOffset=0 ti=256 vIdx=0 rIdx=0 oIdx=0 buffer=1 iui=0
s_waitcnt lgkmcnt(6)                               // lgkmcnt=0 vmcnt=-1wait for prior local read local write old=0, new=6 newLW=0 newLR=6
/* pack scheduling: packAIdx:2, packBIdx:0 */
v_or_b32 v[vgprValuA_X0_I0+0], v[vgprValuA_X0_I0+0], v51 // pack two half Vgpr to one Vgpr
v_or_b32 v[vgprValuA_X0_I0+1], v[vgprValuA_X0_I0+1], v52 // pack two half Vgpr to one Vgpr
v_or_b32 v[vgprValuA_X0_I0+2], v[vgprValuA_X0_I0+2], v53 // pack two half Vgpr to one Vgpr
v_or_b32 v[vgprValuA_X0_I0+3], v[vgprValuA_X0_I0+3], v54 // pack two half Vgpr to one Vgpr
v_mfma_f32_32x32x4f16 a[0+0:31+0], v[vgprValuA_X0_I0+0+0+0:vgprValuA_X0_I0+0+0+0+1], v[vgprValuB_X0_I0+0+0+0:vgprValuB_X0_I0+0+0+0+1], a[0:31]
/*  mfmaIndex:9  */
_ds_load_u16_d16_hi v57, v[vgprLocalReadAddrA] offset:6658 // L -> Reg lro=3072 swapByteOffset=0 ti=256 vIdx=0 rIdx=1 oIdx=0 buffer=1 iui=0
_ds_load_u16 v[vgprValuA_X1_I0+3], v[vgprLocalReadAddrA] offset:7170 // L -> Reg lro=3072 swapByteOffset=0 ti=256 vIdx=0 rIdx=2 oIdx=0 buffer=1 iui=0
_ds_load_u16_d16_hi v58, v[vgprLocalReadAddrA] offset:7682 // L -> Reg lro=3072 swapByteOffset=0 ti=256 vIdx=0 rIdx=3 oIdx=0 buffer=1 iui=0
_ds_load_b64 v[vgprValuB_X1_I0+2:vgprValuB_X1_I0+2+1], v[vgprLocalReadAddrB] offset:88 // L -> Reg lro=12 swapByteOffset=0 ti=128 vIdx=0 rIdx=0 oIdx=0 buffer=1 iui=0
/* localReadsVacancy: latencyLeft 5 */
v_mfma_f32_32x32x4f16 a[32+0:63+0], v[vgprValuA_X0_I0+2+0+0:vgprValuA_X0_I0+2+0+0+1], v[vgprValuB_X0_I0+0+0+0:vgprValuB_X0_I0+0+0+0+1], a[32:63]
/*  mfmaIndex:10  */
/* localReadsVacancy: latencyLeft 13 */
v_mfma_f32_32x32x4f16 a[96+0:127+0], v[vgprValuA_X0_I0+2+0+0:vgprValuA_X0_I0+2+0+0+1], v[vgprValuB_X0_I0+2+0+0:vgprValuB_X0_I0+2+0+0+1], a[96:127]
/*  mfmaIndex:11  */
/* localReadsVacancy: latencyLeft 13 */
v_mfma_f32_32x32x4f16 a[64+0:95+0], v[vgprValuA_X0_I0+0+0+0:vgprValuA_X0_I0+0+0+0+1], v[vgprValuB_X0_I0+2+0+0:vgprValuB_X0_I0+2+0+0+1], a[64:95]
/* numPrefetchIter=0 */
/* dataAtIterA=1 numReadsIterA=3 skipReadsIterA=1 readsPerIterA=8 */
/* dataAtIterB=1 numReadsIterB=3 skipReadsIterB=1 readsPerIterB=2 */


/* iter 3 (last unrolled loop) */

/*  grEndMfmaIndex:0, lwStartMfmaIndex:27, lwEndMfmaIndex:27  */
/*  numMfmaForLR:2, barrierMfmaIndex:29 */
/*  mfmaIndex:12  */
_ds_load_u16 v[vgprValuA_X0_I0+0], v[vgprLocalReadAddrA] offset:8192 // L -> Reg lro=4096 swapByteOffset=0 ti=256 vIdx=0 rIdx=0 oIdx=0 buffer=0 iui=0
_ds_load_u16_d16_hi v51, v[vgprLocalReadAddrA] offset:8704 // L -> Reg lro=4096 swapByteOffset=0 ti=256 vIdx=0 rIdx=1 oIdx=0 buffer=0 iui=0
_ds_load_u16 v[vgprValuA_X0_I0+1], v[vgprLocalReadAddrA] offset:9216 // L -> Reg lro=4096 swapByteOffset=0 ti=256 vIdx=0 rIdx=2 oIdx=0 buffer=0 iui=0
_ds_load_u16_d16_hi v52, v[vgprLocalReadAddrA] offset:9728 // L -> Reg lro=4096 swapByteOffset=0 ti=256 vIdx=0 rIdx=3 oIdx=0 buffer=0 iui=0
_ds_load_b64 v[vgprValuB_X0_I0+0:vgprValuB_X0_I0+0+1], v[vgprLocalReadAddrB] offset:32 // L -> Reg lro=16 swapByteOffset=0 ti=128 vIdx=0 rIdx=0 oIdx=0 buffer=0 iui=0
_ds_load_u16 v[vgprValuA_X0_I0+2], v[vgprLocalReadAddrA] offset:8194 // L -> Reg lro=4096 swapByteOffset=0 ti=256 vIdx=0 rIdx=0 oIdx=0 buffer=0 iui=0
s_waitcnt lgkmcnt(6)                               // lgkmcnt=0 vmcnt=-1wait for prior local read local write old=0, new=6 newLW=0 newLR=6
/* pack scheduling: packAIdx:2, packBIdx:0 */
v_or_b32 v[vgprValuA_X1_I0+0], v[vgprValuA_X1_I0+0], v55 // pack two half Vgpr to one Vgpr
v_or_b32 v[vgprValuA_X1_I0+1], v[vgprValuA_X1_I0+1], v56 // pack two half Vgpr to one Vgpr
	;; [unrolled: 1-line block ×4, first 2 shown]
v_mfma_f32_32x32x4f16 a[0+0:31+0], v[vgprValuA_X1_I0+0+0+0:vgprValuA_X1_I0+0+0+0+1], v[vgprValuB_X1_I0+0+0+0:vgprValuB_X1_I0+0+0+0+1], a[0:31]
/*  mfmaIndex:13  */
_ds_load_u16_d16_hi v53, v[vgprLocalReadAddrA] offset:8706 // L -> Reg lro=4096 swapByteOffset=0 ti=256 vIdx=0 rIdx=1 oIdx=0 buffer=0 iui=0
_ds_load_u16 v[vgprValuA_X0_I0+3], v[vgprLocalReadAddrA] offset:9218 // L -> Reg lro=4096 swapByteOffset=0 ti=256 vIdx=0 rIdx=2 oIdx=0 buffer=0 iui=0
_ds_load_u16_d16_hi v54, v[vgprLocalReadAddrA] offset:9730 // L -> Reg lro=4096 swapByteOffset=0 ti=256 vIdx=0 rIdx=3 oIdx=0 buffer=0 iui=0
_ds_load_b64 v[vgprValuB_X0_I0+2:vgprValuB_X0_I0+2+1], v[vgprLocalReadAddrB] offset:96 // L -> Reg lro=16 swapByteOffset=0 ti=128 vIdx=0 rIdx=0 oIdx=0 buffer=0 iui=0
/* localReadsVacancy: latencyLeft 5 */
v_mfma_f32_32x32x4f16 a[32+0:63+0], v[vgprValuA_X1_I0+2+0+0:vgprValuA_X1_I0+2+0+0+1], v[vgprValuB_X1_I0+0+0+0:vgprValuB_X1_I0+0+0+0+1], a[32:63]
/*  mfmaIndex:14  */
/* localReadsVacancy: latencyLeft 13 */
v_mfma_f32_32x32x4f16 a[96+0:127+0], v[vgprValuA_X1_I0+2+0+0:vgprValuA_X1_I0+2+0+0+1], v[vgprValuB_X1_I0+2+0+0:vgprValuB_X1_I0+2+0+0+1], a[96:127]
/*  mfmaIndex:15  */
/* localReadsVacancy: latencyLeft 13 */
v_mfma_f32_32x32x4f16 a[64+0:95+0], v[vgprValuA_X1_I0+0+0+0:vgprValuA_X1_I0+0+0+0+1], v[vgprValuB_X1_I0+2+0+0:vgprValuB_X1_I0+2+0+0+1], a[64:95]
/* numPrefetchIter=0 */
/* dataAtIterA=2 numReadsIterA=4 skipReadsIterA=1 readsPerIterA=8 */
/* dataAtIterB=2 numReadsIterB=4 skipReadsIterB=1 readsPerIterB=2 */


/* iter 4 (last unrolled loop) */

/*  grEndMfmaIndex:0, lwStartMfmaIndex:27, lwEndMfmaIndex:27  */
/*  numMfmaForLR:2, barrierMfmaIndex:29 */
/*  mfmaIndex:16  */
_ds_load_u16 v[vgprValuA_X1_I0+0], v[vgprLocalReadAddrA] offset:10240 // L -> Reg lro=5120 swapByteOffset=0 ti=256 vIdx=0 rIdx=0 oIdx=0 buffer=1 iui=0
_ds_load_u16_d16_hi v55, v[vgprLocalReadAddrA] offset:10752 // L -> Reg lro=5120 swapByteOffset=0 ti=256 vIdx=0 rIdx=1 oIdx=0 buffer=1 iui=0
_ds_load_u16 v[vgprValuA_X1_I0+1], v[vgprLocalReadAddrA] offset:11264 // L -> Reg lro=5120 swapByteOffset=0 ti=256 vIdx=0 rIdx=2 oIdx=0 buffer=1 iui=0
_ds_load_u16_d16_hi v56, v[vgprLocalReadAddrA] offset:11776 // L -> Reg lro=5120 swapByteOffset=0 ti=256 vIdx=0 rIdx=3 oIdx=0 buffer=1 iui=0
_ds_load_b64 v[vgprValuB_X1_I0+0:vgprValuB_X1_I0+0+1], v[vgprLocalReadAddrB] offset:40 // L -> Reg lro=20 swapByteOffset=0 ti=128 vIdx=0 rIdx=0 oIdx=0 buffer=1 iui=0
_ds_load_u16 v[vgprValuA_X1_I0+2], v[vgprLocalReadAddrA] offset:10242 // L -> Reg lro=5120 swapByteOffset=0 ti=256 vIdx=0 rIdx=0 oIdx=0 buffer=1 iui=0
s_waitcnt lgkmcnt(6)                               // lgkmcnt=0 vmcnt=-1wait for prior local read local write old=0, new=6 newLW=0 newLR=6
/* pack scheduling: packAIdx:2, packBIdx:0 */
v_or_b32 v[vgprValuA_X0_I0+0], v[vgprValuA_X0_I0+0], v51 // pack two half Vgpr to one Vgpr
v_or_b32 v[vgprValuA_X0_I0+1], v[vgprValuA_X0_I0+1], v52 // pack two half Vgpr to one Vgpr
	;; [unrolled: 1-line block ×4, first 2 shown]
v_mfma_f32_32x32x4f16 a[0+0:31+0], v[vgprValuA_X0_I0+0+0+0:vgprValuA_X0_I0+0+0+0+1], v[vgprValuB_X0_I0+0+0+0:vgprValuB_X0_I0+0+0+0+1], a[0:31]
/*  mfmaIndex:17  */
_ds_load_u16_d16_hi v57, v[vgprLocalReadAddrA] offset:10754 // L -> Reg lro=5120 swapByteOffset=0 ti=256 vIdx=0 rIdx=1 oIdx=0 buffer=1 iui=0
_ds_load_u16 v[vgprValuA_X1_I0+3], v[vgprLocalReadAddrA] offset:11266 // L -> Reg lro=5120 swapByteOffset=0 ti=256 vIdx=0 rIdx=2 oIdx=0 buffer=1 iui=0
_ds_load_u16_d16_hi v58, v[vgprLocalReadAddrA] offset:11778 // L -> Reg lro=5120 swapByteOffset=0 ti=256 vIdx=0 rIdx=3 oIdx=0 buffer=1 iui=0
_ds_load_b64 v[vgprValuB_X1_I0+2:vgprValuB_X1_I0+2+1], v[vgprLocalReadAddrB] offset:104 // L -> Reg lro=20 swapByteOffset=0 ti=128 vIdx=0 rIdx=0 oIdx=0 buffer=1 iui=0
/* localReadsVacancy: latencyLeft 5 */
v_mfma_f32_32x32x4f16 a[32+0:63+0], v[vgprValuA_X0_I0+2+0+0:vgprValuA_X0_I0+2+0+0+1], v[vgprValuB_X0_I0+0+0+0:vgprValuB_X0_I0+0+0+0+1], a[32:63]
/*  mfmaIndex:18  */
/* localReadsVacancy: latencyLeft 13 */
v_mfma_f32_32x32x4f16 a[96+0:127+0], v[vgprValuA_X0_I0+2+0+0:vgprValuA_X0_I0+2+0+0+1], v[vgprValuB_X0_I0+2+0+0:vgprValuB_X0_I0+2+0+0+1], a[96:127]
/*  mfmaIndex:19  */
/* localReadsVacancy: latencyLeft 13 */
v_mfma_f32_32x32x4f16 a[64+0:95+0], v[vgprValuA_X0_I0+0+0+0:vgprValuA_X0_I0+0+0+0+1], v[vgprValuB_X0_I0+2+0+0:vgprValuB_X0_I0+2+0+0+1], a[64:95]
/* numPrefetchIter=0 */
/* dataAtIterA=3 numReadsIterA=5 skipReadsIterA=1 readsPerIterA=8 */
/* dataAtIterB=3 numReadsIterB=5 skipReadsIterB=1 readsPerIterB=2 */


/* iter 5 (last unrolled loop) */

/*  grEndMfmaIndex:0, lwStartMfmaIndex:27, lwEndMfmaIndex:27  */
/*  numMfmaForLR:2, barrierMfmaIndex:29 */
/*  mfmaIndex:20  */
_ds_load_u16 v[vgprValuA_X0_I0+0], v[vgprLocalReadAddrA] offset:12288 // L -> Reg lro=6144 swapByteOffset=0 ti=256 vIdx=0 rIdx=0 oIdx=0 buffer=0 iui=0
_ds_load_u16_d16_hi v51, v[vgprLocalReadAddrA] offset:12800 // L -> Reg lro=6144 swapByteOffset=0 ti=256 vIdx=0 rIdx=1 oIdx=0 buffer=0 iui=0
_ds_load_u16 v[vgprValuA_X0_I0+1], v[vgprLocalReadAddrA] offset:13312 // L -> Reg lro=6144 swapByteOffset=0 ti=256 vIdx=0 rIdx=2 oIdx=0 buffer=0 iui=0
_ds_load_u16_d16_hi v52, v[vgprLocalReadAddrA] offset:13824 // L -> Reg lro=6144 swapByteOffset=0 ti=256 vIdx=0 rIdx=3 oIdx=0 buffer=0 iui=0
_ds_load_b64 v[vgprValuB_X0_I0+0:vgprValuB_X0_I0+0+1], v[vgprLocalReadAddrB] offset:48 // L -> Reg lro=24 swapByteOffset=0 ti=128 vIdx=0 rIdx=0 oIdx=0 buffer=0 iui=0
_ds_load_u16 v[vgprValuA_X0_I0+2], v[vgprLocalReadAddrA] offset:12290 // L -> Reg lro=6144 swapByteOffset=0 ti=256 vIdx=0 rIdx=0 oIdx=0 buffer=0 iui=0
s_waitcnt lgkmcnt(6)                               // lgkmcnt=0 vmcnt=-1wait for prior local read local write old=0, new=6 newLW=0 newLR=6
/* pack scheduling: packAIdx:2, packBIdx:0 */
v_or_b32 v[vgprValuA_X1_I0+0], v[vgprValuA_X1_I0+0], v55 // pack two half Vgpr to one Vgpr
v_or_b32 v[vgprValuA_X1_I0+1], v[vgprValuA_X1_I0+1], v56 // pack two half Vgpr to one Vgpr
	;; [unrolled: 1-line block ×4, first 2 shown]
v_mfma_f32_32x32x4f16 a[0+0:31+0], v[vgprValuA_X1_I0+0+0+0:vgprValuA_X1_I0+0+0+0+1], v[vgprValuB_X1_I0+0+0+0:vgprValuB_X1_I0+0+0+0+1], a[0:31]
/*  mfmaIndex:21  */
_ds_load_u16_d16_hi v53, v[vgprLocalReadAddrA] offset:12802 // L -> Reg lro=6144 swapByteOffset=0 ti=256 vIdx=0 rIdx=1 oIdx=0 buffer=0 iui=0
_ds_load_u16 v[vgprValuA_X0_I0+3], v[vgprLocalReadAddrA] offset:13314 // L -> Reg lro=6144 swapByteOffset=0 ti=256 vIdx=0 rIdx=2 oIdx=0 buffer=0 iui=0
_ds_load_u16_d16_hi v54, v[vgprLocalReadAddrA] offset:13826 // L -> Reg lro=6144 swapByteOffset=0 ti=256 vIdx=0 rIdx=3 oIdx=0 buffer=0 iui=0
_ds_load_b64 v[vgprValuB_X0_I0+2:vgprValuB_X0_I0+2+1], v[vgprLocalReadAddrB] offset:112 // L -> Reg lro=24 swapByteOffset=0 ti=128 vIdx=0 rIdx=0 oIdx=0 buffer=0 iui=0
/* localReadsVacancy: latencyLeft 5 */
v_mfma_f32_32x32x4f16 a[32+0:63+0], v[vgprValuA_X1_I0+2+0+0:vgprValuA_X1_I0+2+0+0+1], v[vgprValuB_X1_I0+0+0+0:vgprValuB_X1_I0+0+0+0+1], a[32:63]
/*  mfmaIndex:22  */
/* localReadsVacancy: latencyLeft 13 */
v_mfma_f32_32x32x4f16 a[96+0:127+0], v[vgprValuA_X1_I0+2+0+0:vgprValuA_X1_I0+2+0+0+1], v[vgprValuB_X1_I0+2+0+0:vgprValuB_X1_I0+2+0+0+1], a[96:127]
/*  mfmaIndex:23  */
/* localReadsVacancy: latencyLeft 13 */
v_mfma_f32_32x32x4f16 a[64+0:95+0], v[vgprValuA_X1_I0+0+0+0:vgprValuA_X1_I0+0+0+0+1], v[vgprValuB_X1_I0+2+0+0:vgprValuB_X1_I0+2+0+0+1], a[64:95]
/* numPrefetchIter=0 */
/* dataAtIterA=4 numReadsIterA=6 skipReadsIterA=1 readsPerIterA=8 */
/* dataAtIterB=4 numReadsIterB=6 skipReadsIterB=1 readsPerIterB=2 */


/* iter 6 (last unrolled loop) */

/*  grEndMfmaIndex:0, lwStartMfmaIndex:27, lwEndMfmaIndex:27  */
/*  numMfmaForLR:2, barrierMfmaIndex:29 */
/*  mfmaIndex:24  */
_ds_load_u16 v[vgprValuA_X1_I0+0], v[vgprLocalReadAddrA] offset:14336 // L -> Reg lro=7168 swapByteOffset=0 ti=256 vIdx=0 rIdx=0 oIdx=0 buffer=1 iui=0
_ds_load_u16_d16_hi v55, v[vgprLocalReadAddrA] offset:14848 // L -> Reg lro=7168 swapByteOffset=0 ti=256 vIdx=0 rIdx=1 oIdx=0 buffer=1 iui=0
_ds_load_u16 v[vgprValuA_X1_I0+1], v[vgprLocalReadAddrA] offset:15360 // L -> Reg lro=7168 swapByteOffset=0 ti=256 vIdx=0 rIdx=2 oIdx=0 buffer=1 iui=0
_ds_load_u16_d16_hi v56, v[vgprLocalReadAddrA] offset:15872 // L -> Reg lro=7168 swapByteOffset=0 ti=256 vIdx=0 rIdx=3 oIdx=0 buffer=1 iui=0
_ds_load_b64 v[vgprValuB_X1_I0+0:vgprValuB_X1_I0+0+1], v[vgprLocalReadAddrB] offset:56 // L -> Reg lro=28 swapByteOffset=0 ti=128 vIdx=0 rIdx=0 oIdx=0 buffer=1 iui=0
_ds_load_u16 v[vgprValuA_X1_I0+2], v[vgprLocalReadAddrA] offset:14338 // L -> Reg lro=7168 swapByteOffset=0 ti=256 vIdx=0 rIdx=0 oIdx=0 buffer=1 iui=0
s_waitcnt lgkmcnt(6)                               // lgkmcnt=0 vmcnt=-1wait for prior local read local write old=0, new=6 newLW=0 newLR=6
/* pack scheduling: packAIdx:2, packBIdx:0 */
v_or_b32 v[vgprValuA_X0_I0+0], v[vgprValuA_X0_I0+0], v51 // pack two half Vgpr to one Vgpr
v_or_b32 v[vgprValuA_X0_I0+1], v[vgprValuA_X0_I0+1], v52 // pack two half Vgpr to one Vgpr
	;; [unrolled: 1-line block ×4, first 2 shown]
v_mfma_f32_32x32x4f16 a[0+0:31+0], v[vgprValuA_X0_I0+0+0+0:vgprValuA_X0_I0+0+0+0+1], v[vgprValuB_X0_I0+0+0+0:vgprValuB_X0_I0+0+0+0+1], a[0:31]
/*  mfmaIndex:25  */
_ds_load_u16_d16_hi v57, v[vgprLocalReadAddrA] offset:14850 // L -> Reg lro=7168 swapByteOffset=0 ti=256 vIdx=0 rIdx=1 oIdx=0 buffer=1 iui=0
_ds_load_u16 v[vgprValuA_X1_I0+3], v[vgprLocalReadAddrA] offset:15362 // L -> Reg lro=7168 swapByteOffset=0 ti=256 vIdx=0 rIdx=2 oIdx=0 buffer=1 iui=0
_ds_load_u16_d16_hi v58, v[vgprLocalReadAddrA] offset:15874 // L -> Reg lro=7168 swapByteOffset=0 ti=256 vIdx=0 rIdx=3 oIdx=0 buffer=1 iui=0
_ds_load_b64 v[vgprValuB_X1_I0+2:vgprValuB_X1_I0+2+1], v[vgprLocalReadAddrB] offset:120 // L -> Reg lro=28 swapByteOffset=0 ti=128 vIdx=0 rIdx=0 oIdx=0 buffer=1 iui=0
/* localReadsVacancy: latencyLeft 5 */
v_mfma_f32_32x32x4f16 a[32+0:63+0], v[vgprValuA_X0_I0+2+0+0:vgprValuA_X0_I0+2+0+0+1], v[vgprValuB_X0_I0+0+0+0:vgprValuB_X0_I0+0+0+0+1], a[32:63]
/*  mfmaIndex:26  */
/* localReadsVacancy: latencyLeft 13 */
v_mfma_f32_32x32x4f16 a[96+0:127+0], v[vgprValuA_X0_I0+2+0+0:vgprValuA_X0_I0+2+0+0+1], v[vgprValuB_X0_I0+2+0+0:vgprValuB_X0_I0+2+0+0+1], a[96:127]
/*  mfmaIndex:27  */
/* localReadsVacancy: latencyLeft 13 */
v_mfma_f32_32x32x4f16 a[64+0:95+0], v[vgprValuA_X0_I0+0+0+0:vgprValuA_X0_I0+0+0+0+1], v[vgprValuB_X0_I0+2+0+0:vgprValuB_X0_I0+2+0+0+1], a[64:95]
/* numPrefetchIter=0 */
/* dataAtIterA=5 numReadsIterA=7 skipReadsIterA=1 readsPerIterA=8 */
/* dataAtIterB=5 numReadsIterB=7 skipReadsIterB=1 readsPerIterB=2 */


/* iter 7 (last unrolled loop) */

/*  grEndMfmaIndex:0, lwStartMfmaIndex:27, lwEndMfmaIndex:27  */
/*  numMfmaForLR:2, barrierMfmaIndex:29 */
/*  mfmaIndex:28  */
s_waitcnt lgkmcnt(0)                               // lgkmcnt=0 vmcnt=-1wait for prior local read local write old=0, new=0 newLW=0 newLR=0
/* pack scheduling: packAIdx:2, packBIdx:0 */
v_or_b32 v[vgprValuA_X1_I0+0], v[vgprValuA_X1_I0+0], v55 // pack two half Vgpr to one Vgpr
v_or_b32 v[vgprValuA_X1_I0+1], v[vgprValuA_X1_I0+1], v56 // pack two half Vgpr to one Vgpr
	;; [unrolled: 1-line block ×4, first 2 shown]
v_mfma_f32_32x32x4f16 a[0+0:31+0], v[vgprValuA_X1_I0+0+0+0:vgprValuA_X1_I0+0+0+0+1], v[vgprValuB_X1_I0+0+0+0:vgprValuB_X1_I0+0+0+0+1], a[0:31]
/*  mfmaIndex:29  */
v_mfma_f32_32x32x4f16 a[32+0:63+0], v[vgprValuA_X1_I0+2+0+0:vgprValuA_X1_I0+2+0+0+1], v[vgprValuB_X1_I0+0+0+0:vgprValuB_X1_I0+0+0+0+1], a[32:63]
/*  mfmaIndex:30  */
	;; [unrolled: 2-line block ×3, first 2 shown]
v_mfma_f32_32x32x4f16 a[64+0:95+0], v[vgprValuA_X1_I0+0+0+0:vgprValuA_X1_I0+0+0+0+1], v[vgprValuB_X1_I0+2+0+0:vgprValuB_X1_I0+2+0+0+1], a[64:95]
/* numPrefetchIter=0 */
/* dataAtIterA=6 numReadsIterA=7 skipReadsIterA=0 readsPerIterA=8 */
/* dataAtIterB=6 numReadsIterB=7 skipReadsIterB=0 readsPerIterB=2 */

PrefetchGlobalLastIterEnd_5:


/******************************************/
/* Tail Loop                              */
/******************************************/


/* local write reset offsets a */


v_and_b32 v[vgprLocalWriteAddrA], 0xf07fff, v[vgprLocalWriteAddrA] // reset to Red


/* local write reset offsets b */


v_and_b32 v[vgprLocalWriteAddrB], 0xf07fff, v[vgprLocalWriteAddrB] // reset to Red


//numIterL = (((sizeL % LOCAL_DEPTHU) + LOCAL_SPLITU - 1) / LOCAL_SPLITU)
s_and_b32 s[sgprLoopCounterL], 31, s[sgprSizesSum+0] // s[sgprLoopCounterL] = s[sgprSizesSum+0] % 32
s_cmp_eq_u32 s[sgprLoopCounterL], 0x0              // numIterL == 0
s_cbranch_scc1 SkipTailLoopL_8                     // skip to end of tail loop b/c numIter==0
s_mov_b32 s[sgprOrigLoopCounter], 0                // repurpose to count each localRead increment


/* Update M0 for DTLDS */



/* global read a */

/* g2l=0, load component 0 */
_buffer_load_b64 v[vgprG2LA+0+0:vgprG2LA+0+0+1], v[vgprGlobalReadOffsetA+0], s[sgprSrdA:sgprSrdA+3], 0, offen offset:0 // load packed 4X buffer value
/* g2l=0, load component 4 */
_buffer_load_b64 v[vgprG2LA+0+2:vgprG2LA+0+2+1], v[vgprGlobalReadOffsetA+0], s[sgprSrdA:sgprSrdA+3], 0, offen offset:8 // load packed 4X buffer value
	;; [unrolled: 2-line block ×8, first 2 shown]


/* Update M0 for DTLDS */


	;; [unrolled: 1-line block ×3, first 2 shown]
/* global read b */

/* g2l=0, load component 0 */
_buffer_load_d16_b16 v[vgprG2LB+0+0], v[vgprGlobalReadOffsetB+0], s[sgprSrdB:sgprSrdB+3], 0, offen offset:0 // load one buffer value
/* g2l=0, load component 1 */
_buffer_load_d16_hi_b16 v51, v[vgprGlobalReadOffsetB+0], s[sgprSrdB:sgprSrdB+3], 0, offen offset:2 // load one buffer value
s_waitcnt vmcnt(0)
v_or_b32 v[vgprG2LB+0+0], v[vgprG2LB+0+0], v51 // HasEccHalf: pack
/* g2l=0, load component 2 */
_buffer_load_d16_b16 v[vgprG2LB+0+1], v[vgprGlobalReadOffsetB+0], s[sgprSrdB:sgprSrdB+3], 0, offen offset:4 // load one buffer value
/* g2l=0, load component 3 */
_buffer_load_d16_hi_b16 v51, v[vgprGlobalReadOffsetB+0], s[sgprSrdB:sgprSrdB+3], 0, offen offset:6 // load one buffer value
s_waitcnt vmcnt(0)
v_or_b32 v[vgprG2LB+0+1], v[vgprG2LB+0+1], v51 // HasEccHalf: pack
	;; [unrolled: 6-line block ×8, first 2 shown]

s_waitcnt vmcnt(0)                                 // lgkmcnt=-1 vmcnt=02wait for global read

s_waitcnt lgkmcnt(0) & vmcnt(0)                    // force waitcnt0
s_barrier //


/* Done global A/B reads */


	;; [unrolled: 1-line block ×4, first 2 shown]
/* local write a */

_ds_store_b128 v[vgprLocalWriteAddrA], v[vgprG2LA+0:vgprG2LA+0+3] offset:0 // lwoA_0_0_0_0 = (0*LSCA) + (0*LSPA)(*MT0I+PAD) = 0
_ds_store_b128 v[vgprLocalWriteAddrA], v[vgprG2LA+4:vgprG2LA+4+3] offset:1024 // lwoA_0_0_1_0 = (0*LSCA) + (1*LSPA)(*MT0I+PAD) = 1024
_ds_store_b128 v[vgprLocalWriteAddrA], v[vgprG2LA+8:vgprG2LA+8+3] offset:2048 // lwoA_0_0_2_0 = (0*LSCA) + (2*LSPA)(*MT0I+PAD) = 2048
_ds_store_b128 v[vgprLocalWriteAddrA], v[vgprG2LA+12:vgprG2LA+12+3] offset:3072 // lwoA_0_0_3_0 = (0*LSCA) + (3*LSPA)(*MT0I+PAD) = 3072


/* local write b */

_ds_store_b128 v[vgprLocalWriteAddrB], v[vgprG2LB+0:vgprG2LB+0+3] offset:0 // lwoB_0_0_0_0 = (0*LSCB)*(MT1J+PAD) + (0*LSPB) = 0
_ds_store_b128 v[vgprLocalWriteAddrB], v[vgprG2LB+4:vgprG2LB+4+3] offset:1152 // lwoB_0_0_1_0 = (0*LSCB)*(MT1J+PAD) + (1*LSPB) = 1152


/* Recalc local read offsets */


s_waitcnt lgkmcnt(0)                               // lgkmcnt=0 vmcnt=-15wait for local write

s_waitcnt lgkmcnt(0) & vmcnt(0)                    // force waitcnt0
s_barrier //


/* local read reset offsets a */


/* localReadResetOffsets */
/* handled internally */
v_and_b32 v[vgprLocalReadAddrA], 0x7fff, v[vgprLocalReadAddrA] // reset Red,Blk -> Red


/* local read reset offsets b */


/* localReadResetOffsets */
/* handled internally */
v_and_b32 v[vgprLocalReadAddrB], 0x7fff, v[vgprLocalReadAddrB] // reset Red,Blk -> Red


/* local read init pointers a */


/* localReadInitPointers */


/* local read init pointers b */


/* localReadInitPointers */


/* tail loop: macs */

TailLoopBeginL_6:


/* tail loop unroll iter 0 */


/* local read a */

_ds_load_u16 v[vgprValuA_X0_I0+0], v[vgprLocalReadAddrA] offset:0 // L -> Reg lro=0 swapByteOffset=0 ti=256 vIdx=0 rIdx=0 oIdx=0 buffer=0 iui=0
_ds_load_u16_d16_hi v51, v[vgprLocalReadAddrA] offset:512 // L -> Reg lro=0 swapByteOffset=0 ti=256 vIdx=0 rIdx=1 oIdx=0 buffer=0 iui=0
_ds_load_u16 v[vgprValuA_X0_I0+1], v[vgprLocalReadAddrA] offset:1024 // L -> Reg lro=0 swapByteOffset=0 ti=256 vIdx=0 rIdx=2 oIdx=0 buffer=0 iui=0
_ds_load_u16_d16_hi v52, v[vgprLocalReadAddrA] offset:1536 // L -> Reg lro=0 swapByteOffset=0 ti=256 vIdx=0 rIdx=3 oIdx=0 buffer=0 iui=0
	;; [unrolled: 2-line block ×4, first 2 shown]


/* local read b */

_ds_load_b64 v[vgprValuB_X0_I0+0:vgprValuB_X0_I0+0+1], v[vgprLocalReadAddrB] offset:0 // L -> Reg lro=0 swapByteOffset=0 ti=128 vIdx=0 rIdx=0 oIdx=0 buffer=0 iui=0
_ds_load_b64 v[vgprValuB_X0_I0+2:vgprValuB_X0_I0+2+1], v[vgprLocalReadAddrB] offset:64 // L -> Reg lro=0 swapByteOffset=0 ti=128 vIdx=0 rIdx=0 oIdx=0 buffer=0 iui=0


/* local read inc a */

s_mov_b32 s31, 0x800                               // inc
_v_add_co_u32 v[vgprLocalReadAddrA], vcc, s31, v[vgprLocalReadAddrA] // lrA += 2048 (LSU*(MT+PAD)*bpe)


/* local read inc b */

s_mov_b32 s31, 0x8                                 // inc
_v_add_co_u32 v[vgprLocalReadAddrB], vcc, s31, v[vgprLocalReadAddrB] // lrB += 8 (LSU*bpe)

s_waitcnt lgkmcnt(0)                               // lgkmcnt=0 vmcnt=-14wait for local read

v_or_b32 v[vgprValuA_X0_I0+0], v[vgprValuA_X0_I0+0], v51 // pack two half Vgpr to one Vgpr
v_or_b32 v[vgprValuA_X0_I0+1], v[vgprValuA_X0_I0+1], v52 // pack two half Vgpr to one Vgpr
	;; [unrolled: 1-line block ×4, first 2 shown]


/* tail loop mfma iter 0: numReadsIterCoalescedA=1, numReadsIterCoalescedB=1 */
v_and_b32 v51, 63, v[vgprSerial]                   // v51 = v[vgprSerial] % 64
v_lshrrev_b32 v51, 6, v51                          // v51 = v51 / 64
v_lshlrev_b32 v51, 0x2, v51                        // v51 = v51 * 4
v_cmp_ge_i32 s[32:33], v51, s[sgprLoopCounterL]    // check K index >= Size L
v_cndmask_b32 v[vgprValuB_X0_I0+0+0+0+0], v[vgprValuB_X0_I0+0+0+0+0], 0x0, s[32:33] // set 0 if K_idx >= sizeL
v_cndmask_b32 v[vgprValuB_X0_I0+2+0+0+0], v[vgprValuB_X0_I0+2+0+0+0], 0x0, s[32:33] // set 0 if K_idx >= sizeL
	;; [unrolled: 1-line block ×4, first 2 shown]
_v_sub_u32 v51, s[sgprLoopCounterL], v51           // get distance between size and k index
v_cmp_lt_i32 s[32:33], v51, 4                      // set partial 0 if distance less than input per thread
s_and_b32 s34, s[sgprLoopCounterL], 3              // get inputs for edge thread
s_sub_u32 s34, 4, s34                              // use shift to fill 0 for outside element
s_lshl_b32 s34, s34, 4                             // use shift to fill 0 for outside element
v_mov_b32 v52, -1                                  // set 0xffffffff
v_mov_b32 v53, -1                                  // set 0xffffffff
v_lshrrev_b64 v[52:53], s34, v[52:53]              // rshift mask for partial k
v_cndmask_b32 v52, -1, v52, s[32:33]               // select shifted mask for partial k
v_cndmask_b32 v53, -1, v53, s[32:33]               // select shifted mask for partial k
v_and_b32 v[vgprValuB_X0_I0+0+0+0+0], v[vgprValuB_X0_I0+0+0+0+0], v52 // 
v_and_b32 v[vgprValuB_X0_I0+0+0+0+1], v[vgprValuB_X0_I0+0+0+0+1], v53 // 
v_and_b32 v[vgprValuB_X0_I0+2+0+0+0], v[vgprValuB_X0_I0+2+0+0+0], v52 // 
v_and_b32 v[vgprValuB_X0_I0+2+0+0+1], v[vgprValuB_X0_I0+2+0+0+1], v53 // 
s_nop 1
v_mfma_f32_32x32x4f16 a[0+0:31+0], v[vgprValuA_X0_I0+0+0+0:vgprValuA_X0_I0+0+0+0+1], v[vgprValuB_X0_I0+0+0+0:vgprValuB_X0_I0+0+0+0+1], a[0:31]
v_mfma_f32_32x32x4f16 a[32+0:63+0], v[vgprValuA_X0_I0+2+0+0:vgprValuA_X0_I0+2+0+0+1], v[vgprValuB_X0_I0+0+0+0:vgprValuB_X0_I0+0+0+0+1], a[32:63]
	;; [unrolled: 1-line block ×4, first 2 shown]


/* closeLoop loopL finalLoop=0 tailLoop=1 */
s_sub_i32 s[sgprLoopCounterL], s[sgprLoopCounterL], 0x4 // dec counterL (tailLoop)
s_add_u32 s[sgprOrigLoopCounter], s[sgprOrigLoopCounter], 0x4 // inc counterL
s_cmp_le_i32 s[sgprLoopCounterL], 0x0              // counterL<=0
s_cbranch_scc1 TailLoopEndL_7                      // exit LoopL


/* tail loop unroll iter 1 */


/* local read a */

_ds_load_u16 v[vgprValuA_X1_I0+0], v[vgprLocalReadAddrA] offset:0 // L -> Reg lro=0 swapByteOffset=0 ti=256 vIdx=0 rIdx=0 oIdx=0 buffer=1 iui=0
_ds_load_u16_d16_hi v51, v[vgprLocalReadAddrA] offset:512 // L -> Reg lro=0 swapByteOffset=0 ti=256 vIdx=0 rIdx=1 oIdx=0 buffer=1 iui=0
_ds_load_u16 v[vgprValuA_X1_I0+1], v[vgprLocalReadAddrA] offset:1024 // L -> Reg lro=0 swapByteOffset=0 ti=256 vIdx=0 rIdx=2 oIdx=0 buffer=1 iui=0
_ds_load_u16_d16_hi v52, v[vgprLocalReadAddrA] offset:1536 // L -> Reg lro=0 swapByteOffset=0 ti=256 vIdx=0 rIdx=3 oIdx=0 buffer=1 iui=0
	;; [unrolled: 2-line block ×4, first 2 shown]


/* local read b */

_ds_load_b64 v[vgprValuB_X1_I0+0:vgprValuB_X1_I0+0+1], v[vgprLocalReadAddrB] offset:0 // L -> Reg lro=0 swapByteOffset=0 ti=128 vIdx=0 rIdx=0 oIdx=0 buffer=1 iui=0
_ds_load_b64 v[vgprValuB_X1_I0+2:vgprValuB_X1_I0+2+1], v[vgprLocalReadAddrB] offset:64 // L -> Reg lro=0 swapByteOffset=0 ti=128 vIdx=0 rIdx=0 oIdx=0 buffer=1 iui=0


/* local read inc a */

s_mov_b32 s31, 0x800                               // inc
_v_add_co_u32 v[vgprLocalReadAddrA], vcc, s31, v[vgprLocalReadAddrA] // lrA += 2048 (LSU*(MT+PAD)*bpe)


/* local read inc b */

s_mov_b32 s31, 0x8                                 // inc
_v_add_co_u32 v[vgprLocalReadAddrB], vcc, s31, v[vgprLocalReadAddrB] // lrB += 8 (LSU*bpe)

s_waitcnt lgkmcnt(0)                               // lgkmcnt=0 vmcnt=-14wait for local read

v_or_b32 v[vgprValuA_X1_I0+0], v[vgprValuA_X1_I0+0], v51 // pack two half Vgpr to one Vgpr
v_or_b32 v[vgprValuA_X1_I0+1], v[vgprValuA_X1_I0+1], v52 // pack two half Vgpr to one Vgpr
	;; [unrolled: 1-line block ×4, first 2 shown]


/* tail loop mfma iter 1: numReadsIterCoalescedA=1, numReadsIterCoalescedB=1 */
v_and_b32 v51, 63, v[vgprSerial]                   // v51 = v[vgprSerial] % 64
v_lshrrev_b32 v51, 6, v51                          // v51 = v51 / 64
v_lshlrev_b32 v51, 0x2, v51                        // v51 = v51 * 4
v_cmp_ge_i32 s[32:33], v51, s[sgprLoopCounterL]    // check K index >= Size L
v_cndmask_b32 v[vgprValuB_X1_I0+0+0+0+0], v[vgprValuB_X1_I0+0+0+0+0], 0x0, s[32:33] // set 0 if K_idx >= sizeL
v_cndmask_b32 v[vgprValuB_X1_I0+2+0+0+0], v[vgprValuB_X1_I0+2+0+0+0], 0x0, s[32:33] // set 0 if K_idx >= sizeL
	;; [unrolled: 1-line block ×4, first 2 shown]
_v_sub_u32 v51, s[sgprLoopCounterL], v51           // get distance between size and k index
v_cmp_lt_i32 s[32:33], v51, 4                      // set partial 0 if distance less than input per thread
s_and_b32 s34, s[sgprLoopCounterL], 3              // get inputs for edge thread
s_sub_u32 s34, 4, s34                              // use shift to fill 0 for outside element
s_lshl_b32 s34, s34, 4                             // use shift to fill 0 for outside element
v_mov_b32 v52, -1                                  // set 0xffffffff
v_mov_b32 v53, -1                                  // set 0xffffffff
v_lshrrev_b64 v[52:53], s34, v[52:53]              // rshift mask for partial k
v_cndmask_b32 v52, -1, v52, s[32:33]               // select shifted mask for partial k
v_cndmask_b32 v53, -1, v53, s[32:33]               // select shifted mask for partial k
v_and_b32 v[vgprValuB_X1_I0+0+0+0+0], v[vgprValuB_X1_I0+0+0+0+0], v52 // 
v_and_b32 v[vgprValuB_X1_I0+0+0+0+1], v[vgprValuB_X1_I0+0+0+0+1], v53 // 
	;; [unrolled: 1-line block ×4, first 2 shown]
s_nop 1
v_mfma_f32_32x32x4f16 a[0+0:31+0], v[vgprValuA_X1_I0+0+0+0:vgprValuA_X1_I0+0+0+0+1], v[vgprValuB_X1_I0+0+0+0:vgprValuB_X1_I0+0+0+0+1], a[0:31]
v_mfma_f32_32x32x4f16 a[32+0:63+0], v[vgprValuA_X1_I0+2+0+0:vgprValuA_X1_I0+2+0+0+1], v[vgprValuB_X1_I0+0+0+0:vgprValuB_X1_I0+0+0+0+1], a[32:63]
	;; [unrolled: 1-line block ×4, first 2 shown]


/* closeLoop loopL finalLoop=0 tailLoop=1 */
s_sub_i32 s[sgprLoopCounterL], s[sgprLoopCounterL], 0x4 // dec counterL (tailLoop)
s_add_u32 s[sgprOrigLoopCounter], s[sgprOrigLoopCounter], 0x4 // inc counterL
s_cmp_le_i32 s[sgprLoopCounterL], 0x0              // counterL<=0
s_cbranch_scc1 TailLoopEndL_7                      // exit LoopL


/* tail loop unroll iter 2 */


/* local read a */

_ds_load_u16 v[vgprValuA_X0_I0+0], v[vgprLocalReadAddrA] offset:0 // L -> Reg lro=0 swapByteOffset=0 ti=256 vIdx=0 rIdx=0 oIdx=0 buffer=0 iui=0
_ds_load_u16_d16_hi v51, v[vgprLocalReadAddrA] offset:512 // L -> Reg lro=0 swapByteOffset=0 ti=256 vIdx=0 rIdx=1 oIdx=0 buffer=0 iui=0
_ds_load_u16 v[vgprValuA_X0_I0+1], v[vgprLocalReadAddrA] offset:1024 // L -> Reg lro=0 swapByteOffset=0 ti=256 vIdx=0 rIdx=2 oIdx=0 buffer=0 iui=0
_ds_load_u16_d16_hi v52, v[vgprLocalReadAddrA] offset:1536 // L -> Reg lro=0 swapByteOffset=0 ti=256 vIdx=0 rIdx=3 oIdx=0 buffer=0 iui=0
_ds_load_u16 v[vgprValuA_X0_I0+2], v[vgprLocalReadAddrA] offset:2 // L -> Reg lro=0 swapByteOffset=0 ti=256 vIdx=0 rIdx=0 oIdx=0 buffer=0 iui=0
_ds_load_u16_d16_hi v53, v[vgprLocalReadAddrA] offset:514 // L -> Reg lro=0 swapByteOffset=0 ti=256 vIdx=0 rIdx=1 oIdx=0 buffer=0 iui=0
_ds_load_u16 v[vgprValuA_X0_I0+3], v[vgprLocalReadAddrA] offset:1026 // L -> Reg lro=0 swapByteOffset=0 ti=256 vIdx=0 rIdx=2 oIdx=0 buffer=0 iui=0
_ds_load_u16_d16_hi v54, v[vgprLocalReadAddrA] offset:1538 // L -> Reg lro=0 swapByteOffset=0 ti=256 vIdx=0 rIdx=3 oIdx=0 buffer=0 iui=0


/* local read b */

_ds_load_b64 v[vgprValuB_X0_I0+0:vgprValuB_X0_I0+0+1], v[vgprLocalReadAddrB] offset:0 // L -> Reg lro=0 swapByteOffset=0 ti=128 vIdx=0 rIdx=0 oIdx=0 buffer=0 iui=0
_ds_load_b64 v[vgprValuB_X0_I0+2:vgprValuB_X0_I0+2+1], v[vgprLocalReadAddrB] offset:64 // L -> Reg lro=0 swapByteOffset=0 ti=128 vIdx=0 rIdx=0 oIdx=0 buffer=0 iui=0


/* local read inc a */

s_mov_b32 s31, 0x800                               // inc
_v_add_co_u32 v[vgprLocalReadAddrA], vcc, s31, v[vgprLocalReadAddrA] // lrA += 2048 (LSU*(MT+PAD)*bpe)


/* local read inc b */

s_mov_b32 s31, 0x8                                 // inc
_v_add_co_u32 v[vgprLocalReadAddrB], vcc, s31, v[vgprLocalReadAddrB] // lrB += 8 (LSU*bpe)

s_waitcnt lgkmcnt(0)                               // lgkmcnt=0 vmcnt=-14wait for local read

v_or_b32 v[vgprValuA_X0_I0+0], v[vgprValuA_X0_I0+0], v51 // pack two half Vgpr to one Vgpr
v_or_b32 v[vgprValuA_X0_I0+1], v[vgprValuA_X0_I0+1], v52 // pack two half Vgpr to one Vgpr
	;; [unrolled: 1-line block ×4, first 2 shown]


/* tail loop mfma iter 2: numReadsIterCoalescedA=1, numReadsIterCoalescedB=1 */
v_and_b32 v51, 63, v[vgprSerial]                   // v51 = v[vgprSerial] % 64
v_lshrrev_b32 v51, 6, v51                          // v51 = v51 / 64
v_lshlrev_b32 v51, 0x2, v51                        // v51 = v51 * 4
v_cmp_ge_i32 s[32:33], v51, s[sgprLoopCounterL]    // check K index >= Size L
v_cndmask_b32 v[vgprValuB_X0_I0+0+0+0+0], v[vgprValuB_X0_I0+0+0+0+0], 0x0, s[32:33] // set 0 if K_idx >= sizeL
v_cndmask_b32 v[vgprValuB_X0_I0+2+0+0+0], v[vgprValuB_X0_I0+2+0+0+0], 0x0, s[32:33] // set 0 if K_idx >= sizeL
	;; [unrolled: 1-line block ×4, first 2 shown]
_v_sub_u32 v51, s[sgprLoopCounterL], v51           // get distance between size and k index
v_cmp_lt_i32 s[32:33], v51, 4                      // set partial 0 if distance less than input per thread
s_and_b32 s34, s[sgprLoopCounterL], 3              // get inputs for edge thread
s_sub_u32 s34, 4, s34                              // use shift to fill 0 for outside element
s_lshl_b32 s34, s34, 4                             // use shift to fill 0 for outside element
v_mov_b32 v52, -1                                  // set 0xffffffff
v_mov_b32 v53, -1                                  // set 0xffffffff
v_lshrrev_b64 v[52:53], s34, v[52:53]              // rshift mask for partial k
v_cndmask_b32 v52, -1, v52, s[32:33]               // select shifted mask for partial k
v_cndmask_b32 v53, -1, v53, s[32:33]               // select shifted mask for partial k
v_and_b32 v[vgprValuB_X0_I0+0+0+0+0], v[vgprValuB_X0_I0+0+0+0+0], v52 // 
v_and_b32 v[vgprValuB_X0_I0+0+0+0+1], v[vgprValuB_X0_I0+0+0+0+1], v53 // 
v_and_b32 v[vgprValuB_X0_I0+2+0+0+0], v[vgprValuB_X0_I0+2+0+0+0], v52 // 
v_and_b32 v[vgprValuB_X0_I0+2+0+0+1], v[vgprValuB_X0_I0+2+0+0+1], v53 // 
s_nop 1
v_mfma_f32_32x32x4f16 a[0+0:31+0], v[vgprValuA_X0_I0+0+0+0:vgprValuA_X0_I0+0+0+0+1], v[vgprValuB_X0_I0+0+0+0:vgprValuB_X0_I0+0+0+0+1], a[0:31]
v_mfma_f32_32x32x4f16 a[32+0:63+0], v[vgprValuA_X0_I0+2+0+0:vgprValuA_X0_I0+2+0+0+1], v[vgprValuB_X0_I0+0+0+0:vgprValuB_X0_I0+0+0+0+1], a[32:63]
	;; [unrolled: 1-line block ×4, first 2 shown]


/* closeLoop loopL finalLoop=0 tailLoop=1 */
s_sub_i32 s[sgprLoopCounterL], s[sgprLoopCounterL], 0x4 // dec counterL (tailLoop)
s_add_u32 s[sgprOrigLoopCounter], s[sgprOrigLoopCounter], 0x4 // inc counterL
s_cmp_le_i32 s[sgprLoopCounterL], 0x0              // counterL<=0
s_cbranch_scc1 TailLoopEndL_7                      // exit LoopL


/* tail loop unroll iter 3 */


/* local read a */

_ds_load_u16 v[vgprValuA_X1_I0+0], v[vgprLocalReadAddrA] offset:0 // L -> Reg lro=0 swapByteOffset=0 ti=256 vIdx=0 rIdx=0 oIdx=0 buffer=1 iui=0
_ds_load_u16_d16_hi v51, v[vgprLocalReadAddrA] offset:512 // L -> Reg lro=0 swapByteOffset=0 ti=256 vIdx=0 rIdx=1 oIdx=0 buffer=1 iui=0
_ds_load_u16 v[vgprValuA_X1_I0+1], v[vgprLocalReadAddrA] offset:1024 // L -> Reg lro=0 swapByteOffset=0 ti=256 vIdx=0 rIdx=2 oIdx=0 buffer=1 iui=0
_ds_load_u16_d16_hi v52, v[vgprLocalReadAddrA] offset:1536 // L -> Reg lro=0 swapByteOffset=0 ti=256 vIdx=0 rIdx=3 oIdx=0 buffer=1 iui=0
	;; [unrolled: 2-line block ×4, first 2 shown]


/* local read b */

_ds_load_b64 v[vgprValuB_X1_I0+0:vgprValuB_X1_I0+0+1], v[vgprLocalReadAddrB] offset:0 // L -> Reg lro=0 swapByteOffset=0 ti=128 vIdx=0 rIdx=0 oIdx=0 buffer=1 iui=0
_ds_load_b64 v[vgprValuB_X1_I0+2:vgprValuB_X1_I0+2+1], v[vgprLocalReadAddrB] offset:64 // L -> Reg lro=0 swapByteOffset=0 ti=128 vIdx=0 rIdx=0 oIdx=0 buffer=1 iui=0


/* local read inc a */

s_mov_b32 s31, 0x800                               // inc
_v_add_co_u32 v[vgprLocalReadAddrA], vcc, s31, v[vgprLocalReadAddrA] // lrA += 2048 (LSU*(MT+PAD)*bpe)


/* local read inc b */

s_mov_b32 s31, 0x8                                 // inc
_v_add_co_u32 v[vgprLocalReadAddrB], vcc, s31, v[vgprLocalReadAddrB] // lrB += 8 (LSU*bpe)

s_waitcnt lgkmcnt(0)                               // lgkmcnt=0 vmcnt=-14wait for local read

v_or_b32 v[vgprValuA_X1_I0+0], v[vgprValuA_X1_I0+0], v51 // pack two half Vgpr to one Vgpr
v_or_b32 v[vgprValuA_X1_I0+1], v[vgprValuA_X1_I0+1], v52 // pack two half Vgpr to one Vgpr
	;; [unrolled: 1-line block ×4, first 2 shown]


/* tail loop mfma iter 3: numReadsIterCoalescedA=1, numReadsIterCoalescedB=1 */
v_and_b32 v51, 63, v[vgprSerial]                   // v51 = v[vgprSerial] % 64
v_lshrrev_b32 v51, 6, v51                          // v51 = v51 / 64
v_lshlrev_b32 v51, 0x2, v51                        // v51 = v51 * 4
v_cmp_ge_i32 s[32:33], v51, s[sgprLoopCounterL]    // check K index >= Size L
v_cndmask_b32 v[vgprValuB_X1_I0+0+0+0+0], v[vgprValuB_X1_I0+0+0+0+0], 0x0, s[32:33] // set 0 if K_idx >= sizeL
v_cndmask_b32 v[vgprValuB_X1_I0+2+0+0+0], v[vgprValuB_X1_I0+2+0+0+0], 0x0, s[32:33] // set 0 if K_idx >= sizeL
	;; [unrolled: 1-line block ×4, first 2 shown]
_v_sub_u32 v51, s[sgprLoopCounterL], v51           // get distance between size and k index
v_cmp_lt_i32 s[32:33], v51, 4                      // set partial 0 if distance less than input per thread
s_and_b32 s34, s[sgprLoopCounterL], 3              // get inputs for edge thread
s_sub_u32 s34, 4, s34                              // use shift to fill 0 for outside element
s_lshl_b32 s34, s34, 4                             // use shift to fill 0 for outside element
v_mov_b32 v52, -1                                  // set 0xffffffff
v_mov_b32 v53, -1                                  // set 0xffffffff
v_lshrrev_b64 v[52:53], s34, v[52:53]              // rshift mask for partial k
v_cndmask_b32 v52, -1, v52, s[32:33]               // select shifted mask for partial k
v_cndmask_b32 v53, -1, v53, s[32:33]               // select shifted mask for partial k
v_and_b32 v[vgprValuB_X1_I0+0+0+0+0], v[vgprValuB_X1_I0+0+0+0+0], v52 // 
v_and_b32 v[vgprValuB_X1_I0+0+0+0+1], v[vgprValuB_X1_I0+0+0+0+1], v53 // 
	;; [unrolled: 1-line block ×4, first 2 shown]
s_nop 1
v_mfma_f32_32x32x4f16 a[0+0:31+0], v[vgprValuA_X1_I0+0+0+0:vgprValuA_X1_I0+0+0+0+1], v[vgprValuB_X1_I0+0+0+0:vgprValuB_X1_I0+0+0+0+1], a[0:31]
v_mfma_f32_32x32x4f16 a[32+0:63+0], v[vgprValuA_X1_I0+2+0+0:vgprValuA_X1_I0+2+0+0+1], v[vgprValuB_X1_I0+0+0+0:vgprValuB_X1_I0+0+0+0+1], a[32:63]
	;; [unrolled: 1-line block ×4, first 2 shown]


/* closeLoop loopL finalLoop=0 tailLoop=1 */
s_sub_i32 s[sgprLoopCounterL], s[sgprLoopCounterL], 0x4 // dec counterL (tailLoop)
s_add_u32 s[sgprOrigLoopCounter], s[sgprOrigLoopCounter], 0x4 // inc counterL
s_cmp_le_i32 s[sgprLoopCounterL], 0x0              // counterL<=0
s_cbranch_scc1 TailLoopEndL_7                      // exit LoopL


/* tail loop unroll iter 4 */


/* local read a */

_ds_load_u16 v[vgprValuA_X0_I0+0], v[vgprLocalReadAddrA] offset:0 // L -> Reg lro=0 swapByteOffset=0 ti=256 vIdx=0 rIdx=0 oIdx=0 buffer=0 iui=0
_ds_load_u16_d16_hi v51, v[vgprLocalReadAddrA] offset:512 // L -> Reg lro=0 swapByteOffset=0 ti=256 vIdx=0 rIdx=1 oIdx=0 buffer=0 iui=0
_ds_load_u16 v[vgprValuA_X0_I0+1], v[vgprLocalReadAddrA] offset:1024 // L -> Reg lro=0 swapByteOffset=0 ti=256 vIdx=0 rIdx=2 oIdx=0 buffer=0 iui=0
_ds_load_u16_d16_hi v52, v[vgprLocalReadAddrA] offset:1536 // L -> Reg lro=0 swapByteOffset=0 ti=256 vIdx=0 rIdx=3 oIdx=0 buffer=0 iui=0
	;; [unrolled: 2-line block ×4, first 2 shown]


/* local read b */

_ds_load_b64 v[vgprValuB_X0_I0+0:vgprValuB_X0_I0+0+1], v[vgprLocalReadAddrB] offset:0 // L -> Reg lro=0 swapByteOffset=0 ti=128 vIdx=0 rIdx=0 oIdx=0 buffer=0 iui=0
_ds_load_b64 v[vgprValuB_X0_I0+2:vgprValuB_X0_I0+2+1], v[vgprLocalReadAddrB] offset:64 // L -> Reg lro=0 swapByteOffset=0 ti=128 vIdx=0 rIdx=0 oIdx=0 buffer=0 iui=0


/* local read inc a */

s_mov_b32 s31, 0x800                               // inc
_v_add_co_u32 v[vgprLocalReadAddrA], vcc, s31, v[vgprLocalReadAddrA] // lrA += 2048 (LSU*(MT+PAD)*bpe)


/* local read inc b */

s_mov_b32 s31, 0x8                                 // inc
_v_add_co_u32 v[vgprLocalReadAddrB], vcc, s31, v[vgprLocalReadAddrB] // lrB += 8 (LSU*bpe)

s_waitcnt lgkmcnt(0)                               // lgkmcnt=0 vmcnt=-14wait for local read

v_or_b32 v[vgprValuA_X0_I0+0], v[vgprValuA_X0_I0+0], v51 // pack two half Vgpr to one Vgpr
v_or_b32 v[vgprValuA_X0_I0+1], v[vgprValuA_X0_I0+1], v52 // pack two half Vgpr to one Vgpr
	;; [unrolled: 1-line block ×4, first 2 shown]


/* tail loop mfma iter 4: numReadsIterCoalescedA=1, numReadsIterCoalescedB=1 */
v_and_b32 v51, 63, v[vgprSerial]                   // v51 = v[vgprSerial] % 64
v_lshrrev_b32 v51, 6, v51                          // v51 = v51 / 64
v_lshlrev_b32 v51, 0x2, v51                        // v51 = v51 * 4
v_cmp_ge_i32 s[32:33], v51, s[sgprLoopCounterL]    // check K index >= Size L
v_cndmask_b32 v[vgprValuB_X0_I0+0+0+0+0], v[vgprValuB_X0_I0+0+0+0+0], 0x0, s[32:33] // set 0 if K_idx >= sizeL
v_cndmask_b32 v[vgprValuB_X0_I0+2+0+0+0], v[vgprValuB_X0_I0+2+0+0+0], 0x0, s[32:33] // set 0 if K_idx >= sizeL
	;; [unrolled: 1-line block ×4, first 2 shown]
_v_sub_u32 v51, s[sgprLoopCounterL], v51           // get distance between size and k index
v_cmp_lt_i32 s[32:33], v51, 4                      // set partial 0 if distance less than input per thread
s_and_b32 s34, s[sgprLoopCounterL], 3              // get inputs for edge thread
s_sub_u32 s34, 4, s34                              // use shift to fill 0 for outside element
s_lshl_b32 s34, s34, 4                             // use shift to fill 0 for outside element
v_mov_b32 v52, -1                                  // set 0xffffffff
v_mov_b32 v53, -1                                  // set 0xffffffff
v_lshrrev_b64 v[52:53], s34, v[52:53]              // rshift mask for partial k
v_cndmask_b32 v52, -1, v52, s[32:33]               // select shifted mask for partial k
v_cndmask_b32 v53, -1, v53, s[32:33]               // select shifted mask for partial k
v_and_b32 v[vgprValuB_X0_I0+0+0+0+0], v[vgprValuB_X0_I0+0+0+0+0], v52 // 
v_and_b32 v[vgprValuB_X0_I0+0+0+0+1], v[vgprValuB_X0_I0+0+0+0+1], v53 // 
v_and_b32 v[vgprValuB_X0_I0+2+0+0+0], v[vgprValuB_X0_I0+2+0+0+0], v52 // 
v_and_b32 v[vgprValuB_X0_I0+2+0+0+1], v[vgprValuB_X0_I0+2+0+0+1], v53 // 
s_nop 1
v_mfma_f32_32x32x4f16 a[0+0:31+0], v[vgprValuA_X0_I0+0+0+0:vgprValuA_X0_I0+0+0+0+1], v[vgprValuB_X0_I0+0+0+0:vgprValuB_X0_I0+0+0+0+1], a[0:31]
v_mfma_f32_32x32x4f16 a[32+0:63+0], v[vgprValuA_X0_I0+2+0+0:vgprValuA_X0_I0+2+0+0+1], v[vgprValuB_X0_I0+0+0+0:vgprValuB_X0_I0+0+0+0+1], a[32:63]
	;; [unrolled: 1-line block ×4, first 2 shown]


/* closeLoop loopL finalLoop=0 tailLoop=1 */
s_sub_i32 s[sgprLoopCounterL], s[sgprLoopCounterL], 0x4 // dec counterL (tailLoop)
s_add_u32 s[sgprOrigLoopCounter], s[sgprOrigLoopCounter], 0x4 // inc counterL
s_cmp_le_i32 s[sgprLoopCounterL], 0x0              // counterL<=0
s_cbranch_scc1 TailLoopEndL_7                      // exit LoopL


/* tail loop unroll iter 5 */


/* local read a */

_ds_load_u16 v[vgprValuA_X1_I0+0], v[vgprLocalReadAddrA] offset:0 // L -> Reg lro=0 swapByteOffset=0 ti=256 vIdx=0 rIdx=0 oIdx=0 buffer=1 iui=0
_ds_load_u16_d16_hi v51, v[vgprLocalReadAddrA] offset:512 // L -> Reg lro=0 swapByteOffset=0 ti=256 vIdx=0 rIdx=1 oIdx=0 buffer=1 iui=0
_ds_load_u16 v[vgprValuA_X1_I0+1], v[vgprLocalReadAddrA] offset:1024 // L -> Reg lro=0 swapByteOffset=0 ti=256 vIdx=0 rIdx=2 oIdx=0 buffer=1 iui=0
_ds_load_u16_d16_hi v52, v[vgprLocalReadAddrA] offset:1536 // L -> Reg lro=0 swapByteOffset=0 ti=256 vIdx=0 rIdx=3 oIdx=0 buffer=1 iui=0
	;; [unrolled: 2-line block ×4, first 2 shown]


/* local read b */

_ds_load_b64 v[vgprValuB_X1_I0+0:vgprValuB_X1_I0+0+1], v[vgprLocalReadAddrB] offset:0 // L -> Reg lro=0 swapByteOffset=0 ti=128 vIdx=0 rIdx=0 oIdx=0 buffer=1 iui=0
_ds_load_b64 v[vgprValuB_X1_I0+2:vgprValuB_X1_I0+2+1], v[vgprLocalReadAddrB] offset:64 // L -> Reg lro=0 swapByteOffset=0 ti=128 vIdx=0 rIdx=0 oIdx=0 buffer=1 iui=0


/* local read inc a */

s_mov_b32 s31, 0x800                               // inc
_v_add_co_u32 v[vgprLocalReadAddrA], vcc, s31, v[vgprLocalReadAddrA] // lrA += 2048 (LSU*(MT+PAD)*bpe)


/* local read inc b */

s_mov_b32 s31, 0x8                                 // inc
_v_add_co_u32 v[vgprLocalReadAddrB], vcc, s31, v[vgprLocalReadAddrB] // lrB += 8 (LSU*bpe)

s_waitcnt lgkmcnt(0)                               // lgkmcnt=0 vmcnt=-14wait for local read

v_or_b32 v[vgprValuA_X1_I0+0], v[vgprValuA_X1_I0+0], v51 // pack two half Vgpr to one Vgpr
v_or_b32 v[vgprValuA_X1_I0+1], v[vgprValuA_X1_I0+1], v52 // pack two half Vgpr to one Vgpr
	;; [unrolled: 1-line block ×4, first 2 shown]


/* tail loop mfma iter 5: numReadsIterCoalescedA=1, numReadsIterCoalescedB=1 */
v_and_b32 v51, 63, v[vgprSerial]                   // v51 = v[vgprSerial] % 64
v_lshrrev_b32 v51, 6, v51                          // v51 = v51 / 64
v_lshlrev_b32 v51, 0x2, v51                        // v51 = v51 * 4
v_cmp_ge_i32 s[32:33], v51, s[sgprLoopCounterL]    // check K index >= Size L
v_cndmask_b32 v[vgprValuB_X1_I0+0+0+0+0], v[vgprValuB_X1_I0+0+0+0+0], 0x0, s[32:33] // set 0 if K_idx >= sizeL
v_cndmask_b32 v[vgprValuB_X1_I0+2+0+0+0], v[vgprValuB_X1_I0+2+0+0+0], 0x0, s[32:33] // set 0 if K_idx >= sizeL
	;; [unrolled: 1-line block ×4, first 2 shown]
_v_sub_u32 v51, s[sgprLoopCounterL], v51           // get distance between size and k index
v_cmp_lt_i32 s[32:33], v51, 4                      // set partial 0 if distance less than input per thread
s_and_b32 s34, s[sgprLoopCounterL], 3              // get inputs for edge thread
s_sub_u32 s34, 4, s34                              // use shift to fill 0 for outside element
s_lshl_b32 s34, s34, 4                             // use shift to fill 0 for outside element
v_mov_b32 v52, -1                                  // set 0xffffffff
v_mov_b32 v53, -1                                  // set 0xffffffff
v_lshrrev_b64 v[52:53], s34, v[52:53]              // rshift mask for partial k
v_cndmask_b32 v52, -1, v52, s[32:33]               // select shifted mask for partial k
v_cndmask_b32 v53, -1, v53, s[32:33]               // select shifted mask for partial k
v_and_b32 v[vgprValuB_X1_I0+0+0+0+0], v[vgprValuB_X1_I0+0+0+0+0], v52 // 
v_and_b32 v[vgprValuB_X1_I0+0+0+0+1], v[vgprValuB_X1_I0+0+0+0+1], v53 // 
	;; [unrolled: 1-line block ×4, first 2 shown]
s_nop 1
v_mfma_f32_32x32x4f16 a[0+0:31+0], v[vgprValuA_X1_I0+0+0+0:vgprValuA_X1_I0+0+0+0+1], v[vgprValuB_X1_I0+0+0+0:vgprValuB_X1_I0+0+0+0+1], a[0:31]
v_mfma_f32_32x32x4f16 a[32+0:63+0], v[vgprValuA_X1_I0+2+0+0:vgprValuA_X1_I0+2+0+0+1], v[vgprValuB_X1_I0+0+0+0:vgprValuB_X1_I0+0+0+0+1], a[32:63]
	;; [unrolled: 1-line block ×4, first 2 shown]


/* closeLoop loopL finalLoop=0 tailLoop=1 */
s_sub_i32 s[sgprLoopCounterL], s[sgprLoopCounterL], 0x4 // dec counterL (tailLoop)
s_add_u32 s[sgprOrigLoopCounter], s[sgprOrigLoopCounter], 0x4 // inc counterL
s_cmp_le_i32 s[sgprLoopCounterL], 0x0              // counterL<=0
s_cbranch_scc1 TailLoopEndL_7                      // exit LoopL


/* tail loop unroll iter 6 */


/* local read a */

_ds_load_u16 v[vgprValuA_X0_I0+0], v[vgprLocalReadAddrA] offset:0 // L -> Reg lro=0 swapByteOffset=0 ti=256 vIdx=0 rIdx=0 oIdx=0 buffer=0 iui=0
_ds_load_u16_d16_hi v51, v[vgprLocalReadAddrA] offset:512 // L -> Reg lro=0 swapByteOffset=0 ti=256 vIdx=0 rIdx=1 oIdx=0 buffer=0 iui=0
_ds_load_u16 v[vgprValuA_X0_I0+1], v[vgprLocalReadAddrA] offset:1024 // L -> Reg lro=0 swapByteOffset=0 ti=256 vIdx=0 rIdx=2 oIdx=0 buffer=0 iui=0
_ds_load_u16_d16_hi v52, v[vgprLocalReadAddrA] offset:1536 // L -> Reg lro=0 swapByteOffset=0 ti=256 vIdx=0 rIdx=3 oIdx=0 buffer=0 iui=0
	;; [unrolled: 2-line block ×4, first 2 shown]


/* local read b */

_ds_load_b64 v[vgprValuB_X0_I0+0:vgprValuB_X0_I0+0+1], v[vgprLocalReadAddrB] offset:0 // L -> Reg lro=0 swapByteOffset=0 ti=128 vIdx=0 rIdx=0 oIdx=0 buffer=0 iui=0
_ds_load_b64 v[vgprValuB_X0_I0+2:vgprValuB_X0_I0+2+1], v[vgprLocalReadAddrB] offset:64 // L -> Reg lro=0 swapByteOffset=0 ti=128 vIdx=0 rIdx=0 oIdx=0 buffer=0 iui=0


/* local read inc a */

s_mov_b32 s31, 0x800                               // inc
_v_add_co_u32 v[vgprLocalReadAddrA], vcc, s31, v[vgprLocalReadAddrA] // lrA += 2048 (LSU*(MT+PAD)*bpe)


/* local read inc b */

s_mov_b32 s31, 0x8                                 // inc
_v_add_co_u32 v[vgprLocalReadAddrB], vcc, s31, v[vgprLocalReadAddrB] // lrB += 8 (LSU*bpe)

s_waitcnt lgkmcnt(0)                               // lgkmcnt=0 vmcnt=-14wait for local read

v_or_b32 v[vgprValuA_X0_I0+0], v[vgprValuA_X0_I0+0], v51 // pack two half Vgpr to one Vgpr
v_or_b32 v[vgprValuA_X0_I0+1], v[vgprValuA_X0_I0+1], v52 // pack two half Vgpr to one Vgpr
	;; [unrolled: 1-line block ×4, first 2 shown]


/* tail loop mfma iter 6: numReadsIterCoalescedA=1, numReadsIterCoalescedB=1 */
v_and_b32 v51, 63, v[vgprSerial]                   // v51 = v[vgprSerial] % 64
v_lshrrev_b32 v51, 6, v51                          // v51 = v51 / 64
v_lshlrev_b32 v51, 0x2, v51                        // v51 = v51 * 4
v_cmp_ge_i32 s[32:33], v51, s[sgprLoopCounterL]    // check K index >= Size L
v_cndmask_b32 v[vgprValuB_X0_I0+0+0+0+0], v[vgprValuB_X0_I0+0+0+0+0], 0x0, s[32:33] // set 0 if K_idx >= sizeL
v_cndmask_b32 v[vgprValuB_X0_I0+2+0+0+0], v[vgprValuB_X0_I0+2+0+0+0], 0x0, s[32:33] // set 0 if K_idx >= sizeL
	;; [unrolled: 1-line block ×4, first 2 shown]
_v_sub_u32 v51, s[sgprLoopCounterL], v51           // get distance between size and k index
v_cmp_lt_i32 s[32:33], v51, 4                      // set partial 0 if distance less than input per thread
s_and_b32 s34, s[sgprLoopCounterL], 3              // get inputs for edge thread
s_sub_u32 s34, 4, s34                              // use shift to fill 0 for outside element
s_lshl_b32 s34, s34, 4                             // use shift to fill 0 for outside element
v_mov_b32 v52, -1                                  // set 0xffffffff
v_mov_b32 v53, -1                                  // set 0xffffffff
v_lshrrev_b64 v[52:53], s34, v[52:53]              // rshift mask for partial k
v_cndmask_b32 v52, -1, v52, s[32:33]               // select shifted mask for partial k
v_cndmask_b32 v53, -1, v53, s[32:33]               // select shifted mask for partial k
v_and_b32 v[vgprValuB_X0_I0+0+0+0+0], v[vgprValuB_X0_I0+0+0+0+0], v52 // 
v_and_b32 v[vgprValuB_X0_I0+0+0+0+1], v[vgprValuB_X0_I0+0+0+0+1], v53 // 
v_and_b32 v[vgprValuB_X0_I0+2+0+0+0], v[vgprValuB_X0_I0+2+0+0+0], v52 // 
v_and_b32 v[vgprValuB_X0_I0+2+0+0+1], v[vgprValuB_X0_I0+2+0+0+1], v53 // 
s_nop 1
v_mfma_f32_32x32x4f16 a[0+0:31+0], v[vgprValuA_X0_I0+0+0+0:vgprValuA_X0_I0+0+0+0+1], v[vgprValuB_X0_I0+0+0+0:vgprValuB_X0_I0+0+0+0+1], a[0:31]
v_mfma_f32_32x32x4f16 a[32+0:63+0], v[vgprValuA_X0_I0+2+0+0:vgprValuA_X0_I0+2+0+0+1], v[vgprValuB_X0_I0+0+0+0:vgprValuB_X0_I0+0+0+0+1], a[32:63]
	;; [unrolled: 1-line block ×4, first 2 shown]


/* closeLoop loopL finalLoop=0 tailLoop=1 */
s_sub_i32 s[sgprLoopCounterL], s[sgprLoopCounterL], 0x4 // dec counterL (tailLoop)
s_add_u32 s[sgprOrigLoopCounter], s[sgprOrigLoopCounter], 0x4 // inc counterL
s_cmp_le_i32 s[sgprLoopCounterL], 0x0              // counterL<=0
s_cbranch_scc1 TailLoopEndL_7                      // exit LoopL


/* tail loop unroll iter 7 */


/* local read a */

_ds_load_u16 v[vgprValuA_X1_I0+0], v[vgprLocalReadAddrA] offset:0 // L -> Reg lro=0 swapByteOffset=0 ti=256 vIdx=0 rIdx=0 oIdx=0 buffer=1 iui=0
_ds_load_u16_d16_hi v51, v[vgprLocalReadAddrA] offset:512 // L -> Reg lro=0 swapByteOffset=0 ti=256 vIdx=0 rIdx=1 oIdx=0 buffer=1 iui=0
_ds_load_u16 v[vgprValuA_X1_I0+1], v[vgprLocalReadAddrA] offset:1024 // L -> Reg lro=0 swapByteOffset=0 ti=256 vIdx=0 rIdx=2 oIdx=0 buffer=1 iui=0
_ds_load_u16_d16_hi v52, v[vgprLocalReadAddrA] offset:1536 // L -> Reg lro=0 swapByteOffset=0 ti=256 vIdx=0 rIdx=3 oIdx=0 buffer=1 iui=0
	;; [unrolled: 2-line block ×4, first 2 shown]


/* local read b */

_ds_load_b64 v[vgprValuB_X1_I0+0:vgprValuB_X1_I0+0+1], v[vgprLocalReadAddrB] offset:0 // L -> Reg lro=0 swapByteOffset=0 ti=128 vIdx=0 rIdx=0 oIdx=0 buffer=1 iui=0
_ds_load_b64 v[vgprValuB_X1_I0+2:vgprValuB_X1_I0+2+1], v[vgprLocalReadAddrB] offset:64 // L -> Reg lro=0 swapByteOffset=0 ti=128 vIdx=0 rIdx=0 oIdx=0 buffer=1 iui=0


/* local read inc a */

s_mov_b32 s31, 0x800                               // inc
_v_add_co_u32 v[vgprLocalReadAddrA], vcc, s31, v[vgprLocalReadAddrA] // lrA += 2048 (LSU*(MT+PAD)*bpe)


/* local read inc b */

s_mov_b32 s31, 0x8                                 // inc
_v_add_co_u32 v[vgprLocalReadAddrB], vcc, s31, v[vgprLocalReadAddrB] // lrB += 8 (LSU*bpe)

s_waitcnt lgkmcnt(0)                               // lgkmcnt=0 vmcnt=-14wait for local read

v_or_b32 v[vgprValuA_X1_I0+0], v[vgprValuA_X1_I0+0], v51 // pack two half Vgpr to one Vgpr
v_or_b32 v[vgprValuA_X1_I0+1], v[vgprValuA_X1_I0+1], v52 // pack two half Vgpr to one Vgpr
	;; [unrolled: 1-line block ×4, first 2 shown]


/* tail loop mfma iter 7: numReadsIterCoalescedA=1, numReadsIterCoalescedB=1 */
v_and_b32 v51, 63, v[vgprSerial]                   // v51 = v[vgprSerial] % 64
v_lshrrev_b32 v51, 6, v51                          // v51 = v51 / 64
v_lshlrev_b32 v51, 0x2, v51                        // v51 = v51 * 4
v_cmp_ge_i32 s[32:33], v51, s[sgprLoopCounterL]    // check K index >= Size L
v_cndmask_b32 v[vgprValuB_X1_I0+0+0+0+0], v[vgprValuB_X1_I0+0+0+0+0], 0x0, s[32:33] // set 0 if K_idx >= sizeL
v_cndmask_b32 v[vgprValuB_X1_I0+2+0+0+0], v[vgprValuB_X1_I0+2+0+0+0], 0x0, s[32:33] // set 0 if K_idx >= sizeL
	;; [unrolled: 1-line block ×4, first 2 shown]
_v_sub_u32 v51, s[sgprLoopCounterL], v51           // get distance between size and k index
v_cmp_lt_i32 s[32:33], v51, 4                      // set partial 0 if distance less than input per thread
s_and_b32 s34, s[sgprLoopCounterL], 3              // get inputs for edge thread
s_sub_u32 s34, 4, s34                              // use shift to fill 0 for outside element
s_lshl_b32 s34, s34, 4                             // use shift to fill 0 for outside element
v_mov_b32 v52, -1                                  // set 0xffffffff
v_mov_b32 v53, -1                                  // set 0xffffffff
v_lshrrev_b64 v[52:53], s34, v[52:53]              // rshift mask for partial k
v_cndmask_b32 v52, -1, v52, s[32:33]               // select shifted mask for partial k
v_cndmask_b32 v53, -1, v53, s[32:33]               // select shifted mask for partial k
v_and_b32 v[vgprValuB_X1_I0+0+0+0+0], v[vgprValuB_X1_I0+0+0+0+0], v52 // 
v_and_b32 v[vgprValuB_X1_I0+0+0+0+1], v[vgprValuB_X1_I0+0+0+0+1], v53 // 
	;; [unrolled: 1-line block ×4, first 2 shown]
s_nop 1
v_mfma_f32_32x32x4f16 a[0+0:31+0], v[vgprValuA_X1_I0+0+0+0:vgprValuA_X1_I0+0+0+0+1], v[vgprValuB_X1_I0+0+0+0:vgprValuB_X1_I0+0+0+0+1], a[0:31]
v_mfma_f32_32x32x4f16 a[32+0:63+0], v[vgprValuA_X1_I0+2+0+0:vgprValuA_X1_I0+2+0+0+1], v[vgprValuB_X1_I0+0+0+0:vgprValuB_X1_I0+0+0+0+1], a[32:63]
	;; [unrolled: 1-line block ×4, first 2 shown]


/* closeLoop loopL finalLoop=1 tailLoop=1 */
s_sub_i32 s[sgprLoopCounterL], s[sgprLoopCounterL], 0x4 // dec counterL (tailLoop)
s_add_u32 s[sgprOrigLoopCounter], s[sgprOrigLoopCounter], 0x4 // inc counterL
s_cmp_le_i32 s[sgprLoopCounterL], 0x0              // counterL<=0
s_cbranch_scc0 TailLoopBeginL_6                    // restart LoopL
TailLoopEndL_7:

SkipTailLoopL_8:

Summation_End_28:
/* endSummation: add vgpr [0...48) to pool */
.set NumFullBlocks, UNDEF
.set WgmRemainder1, UNDEF
.set MagicNumberWgmRemainder1, UNDEF

/* Mapping of Acc register -> C Vgpr register */


/* shift vector components d0 */

v_mov_b32 v1, s[sgprWorkGroup0]                    // 
v_mul_i32_i24 v1, -0x100, v1                       // wg*MT
_v_add_co_u32 v1, vcc, s[sgprSizesFree+0], v1      // wgMT = Size - wg*MT
v_mov_b32 v2, 0x100                                // MT
v_min_u32 v1, v2, v1                               // wgMT = (wgMT < MT) ? wgMT : MT
v_lshrrev_b32 v0, 6, v[vgprSerial]                 // v0 = v[vgprSerial] / 64
v_and_b32 v3, 1, v0                                // v3 = v0 % 2
v_lshrrev_b32 v0, 7, v1                            // v0 = v1 / 128
v_and_b32 v4, 1, v0                                // v4 = v0 % 2
v_cmp_eq_u32 s[32:33], v4, v3                      // wave_id == block_belong_to_wave?
v_cndmask_b32 v1, v2, v1, s[32:33]                 // wgMT = (wgMT < MT) ? wgMT : MT

/* mbReg: which mb block need to shift, mb(matrixInstCoal(32) * VectorWidth(2)) */
v_lshrrev_b32 v2, 4, v1                            // v2 = v1 / 16
v_lshlrev_b32 v4, 0x3, v3                          // v4 = v3 * 8
_v_sub_u32 v2, v2, v4                              // 

/* gbReg: glvw block id */
v_lshrrev_b32 v4, 3, v1                            // v4 = v1 / 8

/* tgbReg: glvw block id */
v_lshrrev_b32 v0, 5, v[vgprSerial]                 // v0 = v[vgprSerial] / 32
v_and_b32 v5, 1, v0                                // v5 = v0 % 2
v_lshlrev_b32 v5, 0x3, v5                          // v5 = v5 * 8
v_lshrrev_b32 v5, 3, v5                            // v5 = v5 / 8
v_lshlrev_b32 v3, 0x4, v3                          // v3 = v3 * 16
_v_add_co_u32 v5, vcc, v3, v5                      // tgbReg = (tid_coal * continOut) / GLVW
_v_sub_u32 v4, v4, v5                              // 

/* vwReg: glvw in which vw block? */
v_and_b32 v3, 7, v1                                // permute register between threads
v_lshrrev_b32 v3, 3, v3                            // permute register between threads

/* rReg : reminder of M_size % GlobalLoadVectorWidth */
v_and_b32 v5, 7, v1                                // v5 = v1 % 8
v_cmp_eq_u32 vcc, v5, 0x1                          // wgMT%VW == 1
s_cbranch_vccnz label_0029                         // branch to shift d0 r=1
v_cmp_eq_u32 vcc, v5, 0x2                          // wgMT%VW == 2
s_cbranch_vccnz label_0046                         // branch to shift d0 r=2
v_cmp_eq_u32 vcc, v5, 0x3                          // wgMT%VW == 3
s_cbranch_vccnz label_0063                         // branch to shift d0 r=3
v_cmp_eq_u32 vcc, v5, 0x4                          // wgMT%VW == 4
s_cbranch_vccnz label_0080                         // branch to shift d0 r=4
v_cmp_eq_u32 vcc, v5, 0x5                          // wgMT%VW == 5
s_cbranch_vccnz label_0097                         // branch to shift d0 r=5
v_cmp_eq_u32 vcc, v5, 0x6                          // wgMT%VW == 6
s_cbranch_vccnz label_0114                         // branch to shift d0 r=6
v_cmp_eq_u32 vcc, v5, 0x7                          // wgMT%VW == 7
s_cbranch_vccnz label_0131                         // branch to shift d0 r=7
s_branch label_0148                                // no shifting

/******************************************/
/* shift d0 r=1                           */
/******************************************/
label_0029:
v_cmp_eq_u32 vcc, v2, 0x0                          // 
s_cbranch_vccnz label_0030                         // branch to shift d0 r1 mb0
v_cmp_eq_u32 vcc, v2, 0x1                          // 
s_cbranch_vccnz label_0032                         // branch to shift d0 r1 mb1
v_cmp_eq_u32 vcc, v2, 0x2                          // 
s_cbranch_vccnz label_0034                         // branch to shift d0 r1 mb2
v_cmp_eq_u32 vcc, v2, 0x3                          // 
s_cbranch_vccnz label_0036                         // branch to shift d0 r1 mb3
v_cmp_eq_u32 vcc, v2, 0x4                          // 
s_cbranch_vccnz label_0038                         // branch to shift d0 r1 mb4
v_cmp_eq_u32 vcc, v2, 0x5                          // 
s_cbranch_vccnz label_0040                         // branch to shift d0 r1 mb5
v_cmp_eq_u32 vcc, v2, 0x6                          // 
s_cbranch_vccnz label_0042                         // branch to shift d0 r1 mb6
v_cmp_eq_u32 vcc, v2, 0x7                          // 
s_cbranch_vccnz label_0044                         // branch to shift d0 r1 mb7

/******************************************/
/* shift d0 r=2                           */
/******************************************/
label_0046:
v_cmp_eq_u32 vcc, v2, 0x0                          // 
s_cbranch_vccnz label_0047                         // branch to shift d0 r2 mb0
v_cmp_eq_u32 vcc, v2, 0x1                          // 
s_cbranch_vccnz label_0049                         // branch to shift d0 r2 mb1
v_cmp_eq_u32 vcc, v2, 0x2                          // 
s_cbranch_vccnz label_0051                         // branch to shift d0 r2 mb2
v_cmp_eq_u32 vcc, v2, 0x3                          // 
s_cbranch_vccnz label_0053                         // branch to shift d0 r2 mb3
v_cmp_eq_u32 vcc, v2, 0x4                          // 
s_cbranch_vccnz label_0055                         // branch to shift d0 r2 mb4
v_cmp_eq_u32 vcc, v2, 0x5                          // 
s_cbranch_vccnz label_0057                         // branch to shift d0 r2 mb5
v_cmp_eq_u32 vcc, v2, 0x6                          // 
s_cbranch_vccnz label_0059                         // branch to shift d0 r2 mb6
v_cmp_eq_u32 vcc, v2, 0x7                          // 
s_cbranch_vccnz label_0061                         // branch to shift d0 r2 mb7

/******************************************/
/* shift d0 r=3                           */
/******************************************/
label_0063:
v_cmp_eq_u32 vcc, v2, 0x0                          // 
s_cbranch_vccnz label_0064                         // branch to shift d0 r3 mb0
v_cmp_eq_u32 vcc, v2, 0x1                          // 
s_cbranch_vccnz label_0066                         // branch to shift d0 r3 mb1
v_cmp_eq_u32 vcc, v2, 0x2                          // 
s_cbranch_vccnz label_0068                         // branch to shift d0 r3 mb2
v_cmp_eq_u32 vcc, v2, 0x3                          // 
s_cbranch_vccnz label_0070                         // branch to shift d0 r3 mb3
v_cmp_eq_u32 vcc, v2, 0x4                          // 
s_cbranch_vccnz label_0072                         // branch to shift d0 r3 mb4
v_cmp_eq_u32 vcc, v2, 0x5                          // 
s_cbranch_vccnz label_0074                         // branch to shift d0 r3 mb5
v_cmp_eq_u32 vcc, v2, 0x6                          // 
s_cbranch_vccnz label_0076                         // branch to shift d0 r3 mb6
v_cmp_eq_u32 vcc, v2, 0x7                          // 
s_cbranch_vccnz label_0078                         // branch to shift d0 r3 mb7

/******************************************/
/* shift d0 r=4                           */
/******************************************/
label_0080:
v_cmp_eq_u32 vcc, v2, 0x0                          // 
s_cbranch_vccnz label_0081                         // branch to shift d0 r4 mb0
v_cmp_eq_u32 vcc, v2, 0x1                          // 
s_cbranch_vccnz label_0083                         // branch to shift d0 r4 mb1
v_cmp_eq_u32 vcc, v2, 0x2                          // 
s_cbranch_vccnz label_0085                         // branch to shift d0 r4 mb2
v_cmp_eq_u32 vcc, v2, 0x3                          // 
s_cbranch_vccnz label_0087                         // branch to shift d0 r4 mb3
v_cmp_eq_u32 vcc, v2, 0x4                          // 
s_cbranch_vccnz label_0089                         // branch to shift d0 r4 mb4
v_cmp_eq_u32 vcc, v2, 0x5                          // 
s_cbranch_vccnz label_0091                         // branch to shift d0 r4 mb5
v_cmp_eq_u32 vcc, v2, 0x6                          // 
s_cbranch_vccnz label_0093                         // branch to shift d0 r4 mb6
v_cmp_eq_u32 vcc, v2, 0x7                          // 
s_cbranch_vccnz label_0095                         // branch to shift d0 r4 mb7

/******************************************/
/* shift d0 r=5                           */
/******************************************/
label_0097:
v_cmp_eq_u32 vcc, v2, 0x0                          // 
s_cbranch_vccnz label_0098                         // branch to shift d0 r5 mb0
v_cmp_eq_u32 vcc, v2, 0x1                          // 
s_cbranch_vccnz label_0100                         // branch to shift d0 r5 mb1
v_cmp_eq_u32 vcc, v2, 0x2                          // 
s_cbranch_vccnz label_0102                         // branch to shift d0 r5 mb2
v_cmp_eq_u32 vcc, v2, 0x3                          // 
s_cbranch_vccnz label_0104                         // branch to shift d0 r5 mb3
v_cmp_eq_u32 vcc, v2, 0x4                          // 
s_cbranch_vccnz label_0106                         // branch to shift d0 r5 mb4
v_cmp_eq_u32 vcc, v2, 0x5                          // 
s_cbranch_vccnz label_0108                         // branch to shift d0 r5 mb5
v_cmp_eq_u32 vcc, v2, 0x6                          // 
s_cbranch_vccnz label_0110                         // branch to shift d0 r5 mb6
v_cmp_eq_u32 vcc, v2, 0x7                          // 
s_cbranch_vccnz label_0112                         // branch to shift d0 r5 mb7

/******************************************/
/* shift d0 r=6                           */
/******************************************/
label_0114:
v_cmp_eq_u32 vcc, v2, 0x0                          // 
s_cbranch_vccnz label_0115                         // branch to shift d0 r6 mb0
v_cmp_eq_u32 vcc, v2, 0x1                          // 
s_cbranch_vccnz label_0117                         // branch to shift d0 r6 mb1
v_cmp_eq_u32 vcc, v2, 0x2                          // 
s_cbranch_vccnz label_0119                         // branch to shift d0 r6 mb2
v_cmp_eq_u32 vcc, v2, 0x3                          // 
s_cbranch_vccnz label_0121                         // branch to shift d0 r6 mb3
v_cmp_eq_u32 vcc, v2, 0x4                          // 
s_cbranch_vccnz label_0123                         // branch to shift d0 r6 mb4
v_cmp_eq_u32 vcc, v2, 0x5                          // 
s_cbranch_vccnz label_0125                         // branch to shift d0 r6 mb5
v_cmp_eq_u32 vcc, v2, 0x6                          // 
s_cbranch_vccnz label_0127                         // branch to shift d0 r6 mb6
v_cmp_eq_u32 vcc, v2, 0x7                          // 
s_cbranch_vccnz label_0129                         // branch to shift d0 r6 mb7

/******************************************/
/* shift d0 r=7                           */
/******************************************/
label_0131:
v_cmp_eq_u32 vcc, v2, 0x0                          // 
s_cbranch_vccnz label_0132                         // branch to shift d0 r7 mb0
v_cmp_eq_u32 vcc, v2, 0x1                          // 
s_cbranch_vccnz label_0134                         // branch to shift d0 r7 mb1
v_cmp_eq_u32 vcc, v2, 0x2                          // 
s_cbranch_vccnz label_0136                         // branch to shift d0 r7 mb2
v_cmp_eq_u32 vcc, v2, 0x3                          // 
s_cbranch_vccnz label_0138                         // branch to shift d0 r7 mb3
v_cmp_eq_u32 vcc, v2, 0x4                          // 
s_cbranch_vccnz label_0140                         // branch to shift d0 r7 mb4
v_cmp_eq_u32 vcc, v2, 0x5                          // 
s_cbranch_vccnz label_0142                         // branch to shift d0 r7 mb5
v_cmp_eq_u32 vcc, v2, 0x6                          // 
s_cbranch_vccnz label_0144                         // branch to shift d0 r7 mb6
v_cmp_eq_u32 vcc, v2, 0x7                          // 
s_cbranch_vccnz label_0146                         // branch to shift d0 r7 mb7

/******************************************/
/* shift d0 r=1 mb=0                      */
/******************************************/
label_0030: // r1 mb0 
v_cmp_eq_u32 vcc, v3, 0x0                          // 
s_cbranch_vccnz label_0031                         // branch to shift d0 r1 mb0 vw0

/******************************************/
/* shift d0 r=1 mb=1                      */
/******************************************/
label_0032: // r1 mb1 
v_cmp_eq_u32 vcc, v3, 0x0                          // 
s_cbranch_vccnz label_0033                         // branch to shift d0 r1 mb1 vw0

/******************************************/
/* shift d0 r=1 mb=2                      */
/******************************************/
label_0034: // r1 mb2 
v_cmp_eq_u32 vcc, v3, 0x0                          // 
s_cbranch_vccnz label_0035                         // branch to shift d0 r1 mb2 vw0

/******************************************/
/* shift d0 r=1 mb=3                      */
/******************************************/
label_0036: // r1 mb3 
v_cmp_eq_u32 vcc, v3, 0x0                          // 
s_cbranch_vccnz label_0037                         // branch to shift d0 r1 mb3 vw0

/******************************************/
/* shift d0 r=1 mb=4                      */
/******************************************/
label_0038: // r1 mb4 
v_cmp_eq_u32 vcc, v3, 0x0                          // 
s_cbranch_vccnz label_0039                         // branch to shift d0 r1 mb4 vw0

/******************************************/
/* shift d0 r=1 mb=5                      */
/******************************************/
label_0040: // r1 mb5 
v_cmp_eq_u32 vcc, v3, 0x0                          // 
s_cbranch_vccnz label_0041                         // branch to shift d0 r1 mb5 vw0

/******************************************/
/* shift d0 r=1 mb=6                      */
/******************************************/
label_0042: // r1 mb6 
v_cmp_eq_u32 vcc, v3, 0x0                          // 
s_cbranch_vccnz label_0043                         // branch to shift d0 r1 mb6 vw0

/******************************************/
/* shift d0 r=1 mb=7                      */
/******************************************/
label_0044: // r1 mb7 
v_cmp_eq_u32 vcc, v3, 0x0                          // 
s_cbranch_vccnz label_0045                         // branch to shift d0 r1 mb7 vw0

/******************************************/
/* shift d0 r=2 mb=0                      */
/******************************************/
label_0047: // r2 mb0 
v_cmp_eq_u32 vcc, v3, 0x0                          // 
s_cbranch_vccnz label_0048                         // branch to shift d0 r2 mb0 vw0

/******************************************/
/* shift d0 r=2 mb=1                      */
/******************************************/
label_0049: // r2 mb1 
v_cmp_eq_u32 vcc, v3, 0x0                          // 
s_cbranch_vccnz label_0050                         // branch to shift d0 r2 mb1 vw0

/******************************************/
/* shift d0 r=2 mb=2                      */
/******************************************/
label_0051: // r2 mb2 
v_cmp_eq_u32 vcc, v3, 0x0                          // 
s_cbranch_vccnz label_0052                         // branch to shift d0 r2 mb2 vw0

/******************************************/
/* shift d0 r=2 mb=3                      */
/******************************************/
label_0053: // r2 mb3 
v_cmp_eq_u32 vcc, v3, 0x0                          // 
s_cbranch_vccnz label_0054                         // branch to shift d0 r2 mb3 vw0

/******************************************/
/* shift d0 r=2 mb=4                      */
/******************************************/
label_0055: // r2 mb4 
v_cmp_eq_u32 vcc, v3, 0x0                          // 
s_cbranch_vccnz label_0056                         // branch to shift d0 r2 mb4 vw0

/******************************************/
/* shift d0 r=2 mb=5                      */
/******************************************/
label_0057: // r2 mb5 
v_cmp_eq_u32 vcc, v3, 0x0                          // 
s_cbranch_vccnz label_0058                         // branch to shift d0 r2 mb5 vw0

/******************************************/
/* shift d0 r=2 mb=6                      */
/******************************************/
label_0059: // r2 mb6 
v_cmp_eq_u32 vcc, v3, 0x0                          // 
s_cbranch_vccnz label_0060                         // branch to shift d0 r2 mb6 vw0

/******************************************/
/* shift d0 r=2 mb=7                      */
/******************************************/
label_0061: // r2 mb7 
v_cmp_eq_u32 vcc, v3, 0x0                          // 
s_cbranch_vccnz label_0062                         // branch to shift d0 r2 mb7 vw0

/******************************************/
/* shift d0 r=3 mb=0                      */
/******************************************/
label_0064: // r3 mb0 
v_cmp_eq_u32 vcc, v3, 0x0                          // 
s_cbranch_vccnz label_0065                         // branch to shift d0 r3 mb0 vw0

/******************************************/
/* shift d0 r=3 mb=1                      */
/******************************************/
label_0066: // r3 mb1 
v_cmp_eq_u32 vcc, v3, 0x0                          // 
s_cbranch_vccnz label_0067                         // branch to shift d0 r3 mb1 vw0

/******************************************/
/* shift d0 r=3 mb=2                      */
/******************************************/
label_0068: // r3 mb2 
v_cmp_eq_u32 vcc, v3, 0x0                          // 
s_cbranch_vccnz label_0069                         // branch to shift d0 r3 mb2 vw0

/******************************************/
/* shift d0 r=3 mb=3                      */
/******************************************/
label_0070: // r3 mb3 
v_cmp_eq_u32 vcc, v3, 0x0                          // 
s_cbranch_vccnz label_0071                         // branch to shift d0 r3 mb3 vw0

/******************************************/
/* shift d0 r=3 mb=4                      */
/******************************************/
label_0072: // r3 mb4 
v_cmp_eq_u32 vcc, v3, 0x0                          // 
s_cbranch_vccnz label_0073                         // branch to shift d0 r3 mb4 vw0

/******************************************/
/* shift d0 r=3 mb=5                      */
/******************************************/
label_0074: // r3 mb5 
v_cmp_eq_u32 vcc, v3, 0x0                          // 
s_cbranch_vccnz label_0075                         // branch to shift d0 r3 mb5 vw0

/******************************************/
/* shift d0 r=3 mb=6                      */
/******************************************/
label_0076: // r3 mb6 
v_cmp_eq_u32 vcc, v3, 0x0                          // 
s_cbranch_vccnz label_0077                         // branch to shift d0 r3 mb6 vw0

/******************************************/
/* shift d0 r=3 mb=7                      */
/******************************************/
label_0078: // r3 mb7 
v_cmp_eq_u32 vcc, v3, 0x0                          // 
s_cbranch_vccnz label_0079                         // branch to shift d0 r3 mb7 vw0

/******************************************/
/* shift d0 r=4 mb=0                      */
/******************************************/
label_0081: // r4 mb0 
v_cmp_eq_u32 vcc, v3, 0x0                          // 
s_cbranch_vccnz label_0082                         // branch to shift d0 r4 mb0 vw0

/******************************************/
/* shift d0 r=4 mb=1                      */
/******************************************/
label_0083: // r4 mb1 
v_cmp_eq_u32 vcc, v3, 0x0                          // 
s_cbranch_vccnz label_0084                         // branch to shift d0 r4 mb1 vw0

/******************************************/
/* shift d0 r=4 mb=2                      */
/******************************************/
label_0085: // r4 mb2 
v_cmp_eq_u32 vcc, v3, 0x0                          // 
s_cbranch_vccnz label_0086                         // branch to shift d0 r4 mb2 vw0

/******************************************/
/* shift d0 r=4 mb=3                      */
/******************************************/
label_0087: // r4 mb3 
v_cmp_eq_u32 vcc, v3, 0x0                          // 
s_cbranch_vccnz label_0088                         // branch to shift d0 r4 mb3 vw0

/******************************************/
/* shift d0 r=4 mb=4                      */
/******************************************/
label_0089: // r4 mb4 
v_cmp_eq_u32 vcc, v3, 0x0                          // 
s_cbranch_vccnz label_0090                         // branch to shift d0 r4 mb4 vw0

/******************************************/
/* shift d0 r=4 mb=5                      */
/******************************************/
label_0091: // r4 mb5 
v_cmp_eq_u32 vcc, v3, 0x0                          // 
s_cbranch_vccnz label_0092                         // branch to shift d0 r4 mb5 vw0

/******************************************/
/* shift d0 r=4 mb=6                      */
/******************************************/
label_0093: // r4 mb6 
v_cmp_eq_u32 vcc, v3, 0x0                          // 
s_cbranch_vccnz label_0094                         // branch to shift d0 r4 mb6 vw0

/******************************************/
/* shift d0 r=4 mb=7                      */
/******************************************/
label_0095: // r4 mb7 
v_cmp_eq_u32 vcc, v3, 0x0                          // 
s_cbranch_vccnz label_0096                         // branch to shift d0 r4 mb7 vw0

/******************************************/
/* shift d0 r=5 mb=0                      */
/******************************************/
label_0098: // r5 mb0 
v_cmp_eq_u32 vcc, v3, 0x0                          // 
s_cbranch_vccnz label_0099                         // branch to shift d0 r5 mb0 vw0

/******************************************/
/* shift d0 r=5 mb=1                      */
/******************************************/
label_0100: // r5 mb1 
v_cmp_eq_u32 vcc, v3, 0x0                          // 
s_cbranch_vccnz label_0101                         // branch to shift d0 r5 mb1 vw0

/******************************************/
/* shift d0 r=5 mb=2                      */
/******************************************/
label_0102: // r5 mb2 
v_cmp_eq_u32 vcc, v3, 0x0                          // 
s_cbranch_vccnz label_0103                         // branch to shift d0 r5 mb2 vw0

/******************************************/
/* shift d0 r=5 mb=3                      */
/******************************************/
label_0104: // r5 mb3 
v_cmp_eq_u32 vcc, v3, 0x0                          // 
s_cbranch_vccnz label_0105                         // branch to shift d0 r5 mb3 vw0

/******************************************/
/* shift d0 r=5 mb=4                      */
/******************************************/
label_0106: // r5 mb4 
v_cmp_eq_u32 vcc, v3, 0x0                          // 
s_cbranch_vccnz label_0107                         // branch to shift d0 r5 mb4 vw0

/******************************************/
/* shift d0 r=5 mb=5                      */
/******************************************/
label_0108: // r5 mb5 
v_cmp_eq_u32 vcc, v3, 0x0                          // 
s_cbranch_vccnz label_0109                         // branch to shift d0 r5 mb5 vw0

/******************************************/
/* shift d0 r=5 mb=6                      */
/******************************************/
label_0110: // r5 mb6 
v_cmp_eq_u32 vcc, v3, 0x0                          // 
s_cbranch_vccnz label_0111                         // branch to shift d0 r5 mb6 vw0

/******************************************/
/* shift d0 r=5 mb=7                      */
/******************************************/
label_0112: // r5 mb7 
v_cmp_eq_u32 vcc, v3, 0x0                          // 
s_cbranch_vccnz label_0113                         // branch to shift d0 r5 mb7 vw0

/******************************************/
/* shift d0 r=6 mb=0                      */
/******************************************/
label_0115: // r6 mb0 
v_cmp_eq_u32 vcc, v3, 0x0                          // 
s_cbranch_vccnz label_0116                         // branch to shift d0 r6 mb0 vw0

/******************************************/
/* shift d0 r=6 mb=1                      */
/******************************************/
label_0117: // r6 mb1 
v_cmp_eq_u32 vcc, v3, 0x0                          // 
s_cbranch_vccnz label_0118                         // branch to shift d0 r6 mb1 vw0

/******************************************/
/* shift d0 r=6 mb=2                      */
/******************************************/
label_0119: // r6 mb2 
v_cmp_eq_u32 vcc, v3, 0x0                          // 
s_cbranch_vccnz label_0120                         // branch to shift d0 r6 mb2 vw0

/******************************************/
/* shift d0 r=6 mb=3                      */
/******************************************/
label_0121: // r6 mb3 
v_cmp_eq_u32 vcc, v3, 0x0                          // 
s_cbranch_vccnz label_0122                         // branch to shift d0 r6 mb3 vw0

/******************************************/
/* shift d0 r=6 mb=4                      */
/******************************************/
label_0123: // r6 mb4 
v_cmp_eq_u32 vcc, v3, 0x0                          // 
s_cbranch_vccnz label_0124                         // branch to shift d0 r6 mb4 vw0

/******************************************/
/* shift d0 r=6 mb=5                      */
/******************************************/
label_0125: // r6 mb5 
v_cmp_eq_u32 vcc, v3, 0x0                          // 
s_cbranch_vccnz label_0126                         // branch to shift d0 r6 mb5 vw0

/******************************************/
/* shift d0 r=6 mb=6                      */
/******************************************/
label_0127: // r6 mb6 
v_cmp_eq_u32 vcc, v3, 0x0                          // 
s_cbranch_vccnz label_0128                         // branch to shift d0 r6 mb6 vw0

/******************************************/
/* shift d0 r=6 mb=7                      */
/******************************************/
label_0129: // r6 mb7 
v_cmp_eq_u32 vcc, v3, 0x0                          // 
s_cbranch_vccnz label_0130                         // branch to shift d0 r6 mb7 vw0

/******************************************/
/* shift d0 r=7 mb=0                      */
/******************************************/
label_0132: // r7 mb0 
v_cmp_eq_u32 vcc, v3, 0x0                          // 
s_cbranch_vccnz label_0133                         // branch to shift d0 r7 mb0 vw0

/******************************************/
/* shift d0 r=7 mb=1                      */
/******************************************/
label_0134: // r7 mb1 
v_cmp_eq_u32 vcc, v3, 0x0                          // 
s_cbranch_vccnz label_0135                         // branch to shift d0 r7 mb1 vw0

/******************************************/
/* shift d0 r=7 mb=2                      */
/******************************************/
label_0136: // r7 mb2 
v_cmp_eq_u32 vcc, v3, 0x0                          // 
s_cbranch_vccnz label_0137                         // branch to shift d0 r7 mb2 vw0

/******************************************/
/* shift d0 r=7 mb=3                      */
/******************************************/
label_0138: // r7 mb3 
v_cmp_eq_u32 vcc, v3, 0x0                          // 
s_cbranch_vccnz label_0139                         // branch to shift d0 r7 mb3 vw0

/******************************************/
/* shift d0 r=7 mb=4                      */
/******************************************/
label_0140: // r7 mb4 
v_cmp_eq_u32 vcc, v3, 0x0                          // 
s_cbranch_vccnz label_0141                         // branch to shift d0 r7 mb4 vw0

/******************************************/
/* shift d0 r=7 mb=5                      */
/******************************************/
label_0142: // r7 mb5 
v_cmp_eq_u32 vcc, v3, 0x0                          // 
s_cbranch_vccnz label_0143                         // branch to shift d0 r7 mb5 vw0

/******************************************/
/* shift d0 r=7 mb=6                      */
/******************************************/
label_0144: // r7 mb6 
v_cmp_eq_u32 vcc, v3, 0x0                          // 
s_cbranch_vccnz label_0145                         // branch to shift d0 r7 mb6 vw0

/******************************************/
/* shift d0 r=7 mb=7                      */
/******************************************/
label_0146: // r7 mb7 
v_cmp_eq_u32 vcc, v3, 0x0                          // 
s_cbranch_vccnz label_0147                         // branch to shift d0 r7 mb7 vw0

/******************************************/
/* shift d0 r=1 mb=0 vw0                  */
/******************************************/
label_0031: // r1 mb0 vw0 
s_mov_b32 s32, 0                                   // 
_v_cmpx_eq_u32 s[32:33], v4, s32                   // is thread in edge glvw region
v_and_b32 v0, 63, v[vgprSerial]                    // permute register between threads
v_lshlrev_b32 v0, 2, v0                            // permute register between threads
v_accvgpr_read_b32 v5, acc35                       // glvw 1 mb 0 tt1 0 r 0
s_nop 1                                            // v_accvgpr read vgpr after write vgpr: 2 wait states
v_accvgpr_write_b32 acc0, v5                       // 
v_accvgpr_read_b32 v5, acc99                       // glvw 1 mb 0 tt1 1 r 0
s_nop 1                                            // v_accvgpr read vgpr after write vgpr: 2 wait states
v_accvgpr_write_b32 acc64, v5                      // 
s_mov_b64 s[32:33], 0xFFFFFFFFFFFFFFFF             // to restore all threads active
s_or_saveexec_b64 vcc, s[32:33]                    // all threads active
s_branch label_0148                                // done shifting


/******************************************/
/* shift d0 r=1 mb=1 vw0                  */
/******************************************/
label_0033: // r1 mb1 vw0 
s_mov_b32 s32, 2                                   // 
_v_cmpx_eq_u32 s[32:33], v4, s32                   // is thread in edge glvw region
v_and_b32 v0, 63, v[vgprSerial]                    // permute register between threads
v_lshlrev_b32 v0, 2, v0                            // permute register between threads
v_accvgpr_read_b32 v5, acc39                       // glvw 1 mb 1 tt1 0 r 0
s_nop 1                                            // v_accvgpr read vgpr after write vgpr: 2 wait states
v_accvgpr_write_b32 acc4, v5                       // 
v_accvgpr_read_b32 v5, acc103                      // glvw 1 mb 1 tt1 1 r 0
s_nop 1                                            // v_accvgpr read vgpr after write vgpr: 2 wait states
v_accvgpr_write_b32 acc68, v5                      // 
s_mov_b64 s[32:33], 0xFFFFFFFFFFFFFFFF             // to restore all threads active
s_or_saveexec_b64 vcc, s[32:33]                    // all threads active
s_branch label_0148                                // done shifting


/******************************************/
/* shift d0 r=1 mb=2 vw0                  */
/******************************************/
label_0035: // r1 mb2 vw0 
s_mov_b32 s32, 4                                   // 
_v_cmpx_eq_u32 s[32:33], v4, s32                   // is thread in edge glvw region
v_and_b32 v0, 63, v[vgprSerial]                    // permute register between threads
v_lshlrev_b32 v0, 2, v0                            // permute register between threads
v_accvgpr_read_b32 v5, acc43                       // glvw 1 mb 2 tt1 0 r 0
s_nop 1                                            // v_accvgpr read vgpr after write vgpr: 2 wait states
v_accvgpr_write_b32 acc8, v5                       // 
v_accvgpr_read_b32 v5, acc107                      // glvw 1 mb 2 tt1 1 r 0
s_nop 1                                            // v_accvgpr read vgpr after write vgpr: 2 wait states
v_accvgpr_write_b32 acc72, v5                      // 
s_mov_b64 s[32:33], 0xFFFFFFFFFFFFFFFF             // to restore all threads active
s_or_saveexec_b64 vcc, s[32:33]                    // all threads active
s_branch label_0148                                // done shifting


/******************************************/
/* shift d0 r=1 mb=3 vw0                  */
/******************************************/
label_0037: // r1 mb3 vw0 
s_mov_b32 s32, 6                                   // 
_v_cmpx_eq_u32 s[32:33], v4, s32                   // is thread in edge glvw region
v_and_b32 v0, 63, v[vgprSerial]                    // permute register between threads
v_lshlrev_b32 v0, 2, v0                            // permute register between threads
v_accvgpr_read_b32 v5, acc47                       // glvw 1 mb 3 tt1 0 r 0
s_nop 1                                            // v_accvgpr read vgpr after write vgpr: 2 wait states
v_accvgpr_write_b32 acc12, v5                      // 
v_accvgpr_read_b32 v5, acc111                      // glvw 1 mb 3 tt1 1 r 0
s_nop 1                                            // v_accvgpr read vgpr after write vgpr: 2 wait states
v_accvgpr_write_b32 acc76, v5                      // 
s_mov_b64 s[32:33], 0xFFFFFFFFFFFFFFFF             // to restore all threads active
s_or_saveexec_b64 vcc, s[32:33]                    // all threads active
s_branch label_0148                                // done shifting


/******************************************/
/* shift d0 r=1 mb=4 vw0                  */
/******************************************/
label_0039: // r1 mb4 vw0 
s_mov_b32 s32, 8                                   // 
_v_cmpx_eq_u32 s[32:33], v4, s32                   // is thread in edge glvw region
v_and_b32 v0, 63, v[vgprSerial]                    // permute register between threads
v_lshlrev_b32 v0, 2, v0                            // permute register between threads
v_accvgpr_read_b32 v5, acc51                       // glvw 1 mb 4 tt1 0 r 0
s_nop 1                                            // v_accvgpr read vgpr after write vgpr: 2 wait states
v_accvgpr_write_b32 acc16, v5                      // 
v_accvgpr_read_b32 v5, acc115                      // glvw 1 mb 4 tt1 1 r 0
s_nop 1                                            // v_accvgpr read vgpr after write vgpr: 2 wait states
v_accvgpr_write_b32 acc80, v5                      // 
s_mov_b64 s[32:33], 0xFFFFFFFFFFFFFFFF             // to restore all threads active
s_or_saveexec_b64 vcc, s[32:33]                    // all threads active
s_branch label_0148                                // done shifting


/******************************************/
/* shift d0 r=1 mb=5 vw0                  */
/******************************************/
label_0041: // r1 mb5 vw0 
s_mov_b32 s32, 10                                  // 
_v_cmpx_eq_u32 s[32:33], v4, s32                   // is thread in edge glvw region
v_and_b32 v0, 63, v[vgprSerial]                    // permute register between threads
v_lshlrev_b32 v0, 2, v0                            // permute register between threads
v_accvgpr_read_b32 v5, acc55                       // glvw 1 mb 5 tt1 0 r 0
s_nop 1                                            // v_accvgpr read vgpr after write vgpr: 2 wait states
v_accvgpr_write_b32 acc20, v5                      // 
v_accvgpr_read_b32 v5, acc119                      // glvw 1 mb 5 tt1 1 r 0
s_nop 1                                            // v_accvgpr read vgpr after write vgpr: 2 wait states
v_accvgpr_write_b32 acc84, v5                      // 
s_mov_b64 s[32:33], 0xFFFFFFFFFFFFFFFF             // to restore all threads active
s_or_saveexec_b64 vcc, s[32:33]                    // all threads active
s_branch label_0148                                // done shifting


/******************************************/
/* shift d0 r=1 mb=6 vw0                  */
/******************************************/
label_0043: // r1 mb6 vw0 
s_mov_b32 s32, 12                                  // 
_v_cmpx_eq_u32 s[32:33], v4, s32                   // is thread in edge glvw region
v_and_b32 v0, 63, v[vgprSerial]                    // permute register between threads
v_lshlrev_b32 v0, 2, v0                            // permute register between threads
v_accvgpr_read_b32 v5, acc59                       // glvw 1 mb 6 tt1 0 r 0
s_nop 1                                            // v_accvgpr read vgpr after write vgpr: 2 wait states
v_accvgpr_write_b32 acc24, v5                      // 
v_accvgpr_read_b32 v5, acc123                      // glvw 1 mb 6 tt1 1 r 0
s_nop 1                                            // v_accvgpr read vgpr after write vgpr: 2 wait states
v_accvgpr_write_b32 acc88, v5                      // 
s_mov_b64 s[32:33], 0xFFFFFFFFFFFFFFFF             // to restore all threads active
s_or_saveexec_b64 vcc, s[32:33]                    // all threads active
s_branch label_0148                                // done shifting


/******************************************/
/* shift d0 r=1 mb=7 vw0                  */
/******************************************/
label_0045: // r1 mb7 vw0 
s_mov_b32 s32, 14                                  // 
_v_cmpx_eq_u32 s[32:33], v4, s32                   // is thread in edge glvw region
v_and_b32 v0, 63, v[vgprSerial]                    // permute register between threads
v_lshlrev_b32 v0, 2, v0                            // permute register between threads
v_accvgpr_read_b32 v5, acc63                       // glvw 1 mb 7 tt1 0 r 0
s_nop 1                                            // v_accvgpr read vgpr after write vgpr: 2 wait states
v_accvgpr_write_b32 acc28, v5                      // 
v_accvgpr_read_b32 v5, acc127                      // glvw 1 mb 7 tt1 1 r 0
s_nop 1                                            // v_accvgpr read vgpr after write vgpr: 2 wait states
v_accvgpr_write_b32 acc92, v5                      // 
s_mov_b64 s[32:33], 0xFFFFFFFFFFFFFFFF             // to restore all threads active
s_or_saveexec_b64 vcc, s[32:33]                    // all threads active
s_branch label_0148                                // done shifting


/******************************************/
/* shift d0 r=2 mb=0 vw0                  */
/******************************************/
label_0048: // r2 mb0 vw0 
s_mov_b32 s32, 0                                   // 
_v_cmpx_eq_u32 s[32:33], v4, s32                   // is thread in edge glvw region
v_and_b32 v0, 63, v[vgprSerial]                    // permute register between threads
v_lshlrev_b32 v0, 2, v0                            // permute register between threads
v_accvgpr_read_b32 v5, acc3                        // glvw 2 mb 0 tt1 0 r 0
v_accvgpr_read_b32 v6, acc35                       // glvw 2 mb 0 tt1 0 r 0
s_nop 1                                            // v_accvgpr read vgpr after write vgpr: 2 wait states
v_accvgpr_write_b32 acc0, v5                       // 
v_accvgpr_write_b32 acc32, v6                      // 
v_accvgpr_read_b32 v5, acc67                       // glvw 2 mb 0 tt1 1 r 0
v_accvgpr_read_b32 v6, acc99                       // glvw 2 mb 0 tt1 1 r 0
s_nop 1                                            // v_accvgpr read vgpr after write vgpr: 2 wait states
v_accvgpr_write_b32 acc64, v5                      // 
v_accvgpr_write_b32 acc96, v6                      // 
s_mov_b64 s[32:33], 0xFFFFFFFFFFFFFFFF             // to restore all threads active
s_or_saveexec_b64 vcc, s[32:33]                    // all threads active
s_branch label_0148                                // done shifting


/******************************************/
/* shift d0 r=2 mb=1 vw0                  */
/******************************************/
label_0050: // r2 mb1 vw0 
s_mov_b32 s32, 2                                   // 
_v_cmpx_eq_u32 s[32:33], v4, s32                   // is thread in edge glvw region
v_and_b32 v0, 63, v[vgprSerial]                    // permute register between threads
v_lshlrev_b32 v0, 2, v0                            // permute register between threads
v_accvgpr_read_b32 v5, acc7                        // glvw 2 mb 1 tt1 0 r 0
v_accvgpr_read_b32 v6, acc39                       // glvw 2 mb 1 tt1 0 r 0
s_nop 1                                            // v_accvgpr read vgpr after write vgpr: 2 wait states
v_accvgpr_write_b32 acc4, v5                       // 
v_accvgpr_write_b32 acc36, v6                      // 
v_accvgpr_read_b32 v5, acc71                       // glvw 2 mb 1 tt1 1 r 0
v_accvgpr_read_b32 v6, acc103                      // glvw 2 mb 1 tt1 1 r 0
s_nop 1                                            // v_accvgpr read vgpr after write vgpr: 2 wait states
v_accvgpr_write_b32 acc68, v5                      // 
v_accvgpr_write_b32 acc100, v6                     // 
s_mov_b64 s[32:33], 0xFFFFFFFFFFFFFFFF             // to restore all threads active
s_or_saveexec_b64 vcc, s[32:33]                    // all threads active
s_branch label_0148                                // done shifting


/******************************************/
/* shift d0 r=2 mb=2 vw0                  */
/******************************************/
label_0052: // r2 mb2 vw0 
s_mov_b32 s32, 4                                   // 
_v_cmpx_eq_u32 s[32:33], v4, s32                   // is thread in edge glvw region
v_and_b32 v0, 63, v[vgprSerial]                    // permute register between threads
v_lshlrev_b32 v0, 2, v0                            // permute register between threads
v_accvgpr_read_b32 v5, acc11                       // glvw 2 mb 2 tt1 0 r 0
v_accvgpr_read_b32 v6, acc43                       // glvw 2 mb 2 tt1 0 r 0
s_nop 1                                            // v_accvgpr read vgpr after write vgpr: 2 wait states
v_accvgpr_write_b32 acc8, v5                       // 
v_accvgpr_write_b32 acc40, v6                      // 
v_accvgpr_read_b32 v5, acc75                       // glvw 2 mb 2 tt1 1 r 0
v_accvgpr_read_b32 v6, acc107                      // glvw 2 mb 2 tt1 1 r 0
s_nop 1                                            // v_accvgpr read vgpr after write vgpr: 2 wait states
v_accvgpr_write_b32 acc72, v5                      // 
v_accvgpr_write_b32 acc104, v6                     // 
s_mov_b64 s[32:33], 0xFFFFFFFFFFFFFFFF             // to restore all threads active
s_or_saveexec_b64 vcc, s[32:33]                    // all threads active
s_branch label_0148                                // done shifting


/******************************************/
/* shift d0 r=2 mb=3 vw0                  */
/******************************************/
label_0054: // r2 mb3 vw0 
s_mov_b32 s32, 6                                   // 
_v_cmpx_eq_u32 s[32:33], v4, s32                   // is thread in edge glvw region
v_and_b32 v0, 63, v[vgprSerial]                    // permute register between threads
v_lshlrev_b32 v0, 2, v0                            // permute register between threads
v_accvgpr_read_b32 v5, acc15                       // glvw 2 mb 3 tt1 0 r 0
v_accvgpr_read_b32 v6, acc47                       // glvw 2 mb 3 tt1 0 r 0
s_nop 1                                            // v_accvgpr read vgpr after write vgpr: 2 wait states
v_accvgpr_write_b32 acc12, v5                      // 
v_accvgpr_write_b32 acc44, v6                      // 
v_accvgpr_read_b32 v5, acc79                       // glvw 2 mb 3 tt1 1 r 0
v_accvgpr_read_b32 v6, acc111                      // glvw 2 mb 3 tt1 1 r 0
s_nop 1                                            // v_accvgpr read vgpr after write vgpr: 2 wait states
v_accvgpr_write_b32 acc76, v5                      // 
v_accvgpr_write_b32 acc108, v6                     // 
s_mov_b64 s[32:33], 0xFFFFFFFFFFFFFFFF             // to restore all threads active
s_or_saveexec_b64 vcc, s[32:33]                    // all threads active
s_branch label_0148                                // done shifting


/******************************************/
/* shift d0 r=2 mb=4 vw0                  */
/******************************************/
label_0056: // r2 mb4 vw0 
s_mov_b32 s32, 8                                   // 
_v_cmpx_eq_u32 s[32:33], v4, s32                   // is thread in edge glvw region
v_and_b32 v0, 63, v[vgprSerial]                    // permute register between threads
v_lshlrev_b32 v0, 2, v0                            // permute register between threads
v_accvgpr_read_b32 v5, acc19                       // glvw 2 mb 4 tt1 0 r 0
v_accvgpr_read_b32 v6, acc51                       // glvw 2 mb 4 tt1 0 r 0
s_nop 1                                            // v_accvgpr read vgpr after write vgpr: 2 wait states
v_accvgpr_write_b32 acc16, v5                      // 
v_accvgpr_write_b32 acc48, v6                      // 
v_accvgpr_read_b32 v5, acc83                       // glvw 2 mb 4 tt1 1 r 0
v_accvgpr_read_b32 v6, acc115                      // glvw 2 mb 4 tt1 1 r 0
s_nop 1                                            // v_accvgpr read vgpr after write vgpr: 2 wait states
v_accvgpr_write_b32 acc80, v5                      // 
v_accvgpr_write_b32 acc112, v6                     // 
s_mov_b64 s[32:33], 0xFFFFFFFFFFFFFFFF             // to restore all threads active
s_or_saveexec_b64 vcc, s[32:33]                    // all threads active
s_branch label_0148                                // done shifting


/******************************************/
/* shift d0 r=2 mb=5 vw0                  */
/******************************************/
label_0058: // r2 mb5 vw0 
s_mov_b32 s32, 10                                  // 
_v_cmpx_eq_u32 s[32:33], v4, s32                   // is thread in edge glvw region
v_and_b32 v0, 63, v[vgprSerial]                    // permute register between threads
v_lshlrev_b32 v0, 2, v0                            // permute register between threads
v_accvgpr_read_b32 v5, acc23                       // glvw 2 mb 5 tt1 0 r 0
v_accvgpr_read_b32 v6, acc55                       // glvw 2 mb 5 tt1 0 r 0
s_nop 1                                            // v_accvgpr read vgpr after write vgpr: 2 wait states
v_accvgpr_write_b32 acc20, v5                      // 
v_accvgpr_write_b32 acc52, v6                      // 
v_accvgpr_read_b32 v5, acc87                       // glvw 2 mb 5 tt1 1 r 0
v_accvgpr_read_b32 v6, acc119                      // glvw 2 mb 5 tt1 1 r 0
s_nop 1                                            // v_accvgpr read vgpr after write vgpr: 2 wait states
v_accvgpr_write_b32 acc84, v5                      // 
v_accvgpr_write_b32 acc116, v6                     // 
s_mov_b64 s[32:33], 0xFFFFFFFFFFFFFFFF             // to restore all threads active
s_or_saveexec_b64 vcc, s[32:33]                    // all threads active
s_branch label_0148                                // done shifting


/******************************************/
/* shift d0 r=2 mb=6 vw0                  */
/******************************************/
label_0060: // r2 mb6 vw0 
s_mov_b32 s32, 12                                  // 
_v_cmpx_eq_u32 s[32:33], v4, s32                   // is thread in edge glvw region
v_and_b32 v0, 63, v[vgprSerial]                    // permute register between threads
v_lshlrev_b32 v0, 2, v0                            // permute register between threads
v_accvgpr_read_b32 v5, acc27                       // glvw 2 mb 6 tt1 0 r 0
v_accvgpr_read_b32 v6, acc59                       // glvw 2 mb 6 tt1 0 r 0
s_nop 1                                            // v_accvgpr read vgpr after write vgpr: 2 wait states
v_accvgpr_write_b32 acc24, v5                      // 
v_accvgpr_write_b32 acc56, v6                      // 
v_accvgpr_read_b32 v5, acc91                       // glvw 2 mb 6 tt1 1 r 0
v_accvgpr_read_b32 v6, acc123                      // glvw 2 mb 6 tt1 1 r 0
s_nop 1                                            // v_accvgpr read vgpr after write vgpr: 2 wait states
v_accvgpr_write_b32 acc88, v5                      // 
v_accvgpr_write_b32 acc120, v6                     // 
s_mov_b64 s[32:33], 0xFFFFFFFFFFFFFFFF             // to restore all threads active
s_or_saveexec_b64 vcc, s[32:33]                    // all threads active
s_branch label_0148                                // done shifting


/******************************************/
/* shift d0 r=2 mb=7 vw0                  */
/******************************************/
label_0062: // r2 mb7 vw0 
s_mov_b32 s32, 14                                  // 
_v_cmpx_eq_u32 s[32:33], v4, s32                   // is thread in edge glvw region
v_and_b32 v0, 63, v[vgprSerial]                    // permute register between threads
v_lshlrev_b32 v0, 2, v0                            // permute register between threads
v_accvgpr_read_b32 v5, acc31                       // glvw 2 mb 7 tt1 0 r 0
v_accvgpr_read_b32 v6, acc63                       // glvw 2 mb 7 tt1 0 r 0
s_nop 1                                            // v_accvgpr read vgpr after write vgpr: 2 wait states
v_accvgpr_write_b32 acc28, v5                      // 
v_accvgpr_write_b32 acc60, v6                      // 
v_accvgpr_read_b32 v5, acc95                       // glvw 2 mb 7 tt1 1 r 0
v_accvgpr_read_b32 v6, acc127                      // glvw 2 mb 7 tt1 1 r 0
s_nop 1                                            // v_accvgpr read vgpr after write vgpr: 2 wait states
v_accvgpr_write_b32 acc92, v5                      // 
v_accvgpr_write_b32 acc124, v6                     // 
s_mov_b64 s[32:33], 0xFFFFFFFFFFFFFFFF             // to restore all threads active
s_or_saveexec_b64 vcc, s[32:33]                    // all threads active
s_branch label_0148                                // done shifting


/******************************************/
/* shift d0 r=3 mb=0 vw0                  */
/******************************************/
label_0065: // r3 mb0 vw0 
s_mov_b32 s32, 0                                   // 
_v_cmpx_eq_u32 s[32:33], v4, s32                   // is thread in edge glvw region
v_and_b32 v0, 63, v[vgprSerial]                    // permute register between threads
v_lshlrev_b32 v0, 2, v0                            // permute register between threads
v_accvgpr_read_b32 v5, acc34                       // glvw 3 mb 0 tt1 0 r 0
v_accvgpr_read_b32 v6, acc3                        // glvw 3 mb 0 tt1 0 r 0
v_accvgpr_read_b32 v7, acc35                       // glvw 3 mb 0 tt1 0 r 0
s_nop 1                                            // v_accvgpr read vgpr after write vgpr: 2 wait states
v_accvgpr_write_b32 acc0, v5                       // 
v_accvgpr_write_b32 acc32, v6                      // 
v_accvgpr_write_b32 acc1, v7                       // 
v_accvgpr_read_b32 v5, acc98                       // glvw 3 mb 0 tt1 1 r 0
v_accvgpr_read_b32 v6, acc67                       // glvw 3 mb 0 tt1 1 r 0
v_accvgpr_read_b32 v7, acc99                       // glvw 3 mb 0 tt1 1 r 0
s_nop 1                                            // v_accvgpr read vgpr after write vgpr: 2 wait states
v_accvgpr_write_b32 acc64, v5                      // 
v_accvgpr_write_b32 acc96, v6                      // 
v_accvgpr_write_b32 acc65, v7                      // 
s_mov_b64 s[32:33], 0xFFFFFFFFFFFFFFFF             // to restore all threads active
s_or_saveexec_b64 vcc, s[32:33]                    // all threads active
s_branch label_0148                                // done shifting


/******************************************/
/* shift d0 r=3 mb=1 vw0                  */
/******************************************/
label_0067: // r3 mb1 vw0 
s_mov_b32 s32, 2                                   // 
_v_cmpx_eq_u32 s[32:33], v4, s32                   // is thread in edge glvw region
v_and_b32 v0, 63, v[vgprSerial]                    // permute register between threads
v_lshlrev_b32 v0, 2, v0                            // permute register between threads
v_accvgpr_read_b32 v5, acc38                       // glvw 3 mb 1 tt1 0 r 0
v_accvgpr_read_b32 v6, acc7                        // glvw 3 mb 1 tt1 0 r 0
v_accvgpr_read_b32 v7, acc39                       // glvw 3 mb 1 tt1 0 r 0
s_nop 1                                            // v_accvgpr read vgpr after write vgpr: 2 wait states
v_accvgpr_write_b32 acc4, v5                       // 
v_accvgpr_write_b32 acc36, v6                      // 
v_accvgpr_write_b32 acc5, v7                       // 
v_accvgpr_read_b32 v5, acc102                      // glvw 3 mb 1 tt1 1 r 0
v_accvgpr_read_b32 v6, acc71                       // glvw 3 mb 1 tt1 1 r 0
v_accvgpr_read_b32 v7, acc103                      // glvw 3 mb 1 tt1 1 r 0
s_nop 1                                            // v_accvgpr read vgpr after write vgpr: 2 wait states
v_accvgpr_write_b32 acc68, v5                      // 
v_accvgpr_write_b32 acc100, v6                     // 
v_accvgpr_write_b32 acc69, v7                      // 
s_mov_b64 s[32:33], 0xFFFFFFFFFFFFFFFF             // to restore all threads active
s_or_saveexec_b64 vcc, s[32:33]                    // all threads active
s_branch label_0148                                // done shifting


/******************************************/
/* shift d0 r=3 mb=2 vw0                  */
/******************************************/
label_0069: // r3 mb2 vw0 
s_mov_b32 s32, 4                                   // 
_v_cmpx_eq_u32 s[32:33], v4, s32                   // is thread in edge glvw region
v_and_b32 v0, 63, v[vgprSerial]                    // permute register between threads
v_lshlrev_b32 v0, 2, v0                            // permute register between threads
v_accvgpr_read_b32 v5, acc42                       // glvw 3 mb 2 tt1 0 r 0
v_accvgpr_read_b32 v6, acc11                       // glvw 3 mb 2 tt1 0 r 0
v_accvgpr_read_b32 v7, acc43                       // glvw 3 mb 2 tt1 0 r 0
s_nop 1                                            // v_accvgpr read vgpr after write vgpr: 2 wait states
v_accvgpr_write_b32 acc8, v5                       // 
v_accvgpr_write_b32 acc40, v6                      // 
v_accvgpr_write_b32 acc9, v7                       // 
v_accvgpr_read_b32 v5, acc106                      // glvw 3 mb 2 tt1 1 r 0
v_accvgpr_read_b32 v6, acc75                       // glvw 3 mb 2 tt1 1 r 0
v_accvgpr_read_b32 v7, acc107                      // glvw 3 mb 2 tt1 1 r 0
s_nop 1                                            // v_accvgpr read vgpr after write vgpr: 2 wait states
v_accvgpr_write_b32 acc72, v5                      // 
v_accvgpr_write_b32 acc104, v6                     // 
v_accvgpr_write_b32 acc73, v7                      // 
s_mov_b64 s[32:33], 0xFFFFFFFFFFFFFFFF             // to restore all threads active
s_or_saveexec_b64 vcc, s[32:33]                    // all threads active
s_branch label_0148                                // done shifting


/******************************************/
/* shift d0 r=3 mb=3 vw0                  */
/******************************************/
label_0071: // r3 mb3 vw0 
s_mov_b32 s32, 6                                   // 
_v_cmpx_eq_u32 s[32:33], v4, s32                   // is thread in edge glvw region
v_and_b32 v0, 63, v[vgprSerial]                    // permute register between threads
v_lshlrev_b32 v0, 2, v0                            // permute register between threads
v_accvgpr_read_b32 v5, acc46                       // glvw 3 mb 3 tt1 0 r 0
v_accvgpr_read_b32 v6, acc15                       // glvw 3 mb 3 tt1 0 r 0
v_accvgpr_read_b32 v7, acc47                       // glvw 3 mb 3 tt1 0 r 0
s_nop 1                                            // v_accvgpr read vgpr after write vgpr: 2 wait states
v_accvgpr_write_b32 acc12, v5                      // 
v_accvgpr_write_b32 acc44, v6                      // 
v_accvgpr_write_b32 acc13, v7                      // 
v_accvgpr_read_b32 v5, acc110                      // glvw 3 mb 3 tt1 1 r 0
v_accvgpr_read_b32 v6, acc79                       // glvw 3 mb 3 tt1 1 r 0
v_accvgpr_read_b32 v7, acc111                      // glvw 3 mb 3 tt1 1 r 0
s_nop 1                                            // v_accvgpr read vgpr after write vgpr: 2 wait states
v_accvgpr_write_b32 acc76, v5                      // 
v_accvgpr_write_b32 acc108, v6                     // 
v_accvgpr_write_b32 acc77, v7                      // 
s_mov_b64 s[32:33], 0xFFFFFFFFFFFFFFFF             // to restore all threads active
s_or_saveexec_b64 vcc, s[32:33]                    // all threads active
s_branch label_0148                                // done shifting


/******************************************/
/* shift d0 r=3 mb=4 vw0                  */
/******************************************/
label_0073: // r3 mb4 vw0 
s_mov_b32 s32, 8                                   // 
_v_cmpx_eq_u32 s[32:33], v4, s32                   // is thread in edge glvw region
v_and_b32 v0, 63, v[vgprSerial]                    // permute register between threads
v_lshlrev_b32 v0, 2, v0                            // permute register between threads
v_accvgpr_read_b32 v5, acc50                       // glvw 3 mb 4 tt1 0 r 0
v_accvgpr_read_b32 v6, acc19                       // glvw 3 mb 4 tt1 0 r 0
v_accvgpr_read_b32 v7, acc51                       // glvw 3 mb 4 tt1 0 r 0
s_nop 1                                            // v_accvgpr read vgpr after write vgpr: 2 wait states
v_accvgpr_write_b32 acc16, v5                      // 
v_accvgpr_write_b32 acc48, v6                      // 
v_accvgpr_write_b32 acc17, v7                      // 
v_accvgpr_read_b32 v5, acc114                      // glvw 3 mb 4 tt1 1 r 0
v_accvgpr_read_b32 v6, acc83                       // glvw 3 mb 4 tt1 1 r 0
v_accvgpr_read_b32 v7, acc115                      // glvw 3 mb 4 tt1 1 r 0
s_nop 1                                            // v_accvgpr read vgpr after write vgpr: 2 wait states
v_accvgpr_write_b32 acc80, v5                      // 
v_accvgpr_write_b32 acc112, v6                     // 
v_accvgpr_write_b32 acc81, v7                      // 
s_mov_b64 s[32:33], 0xFFFFFFFFFFFFFFFF             // to restore all threads active
s_or_saveexec_b64 vcc, s[32:33]                    // all threads active
s_branch label_0148                                // done shifting


/******************************************/
/* shift d0 r=3 mb=5 vw0                  */
/******************************************/
label_0075: // r3 mb5 vw0 
s_mov_b32 s32, 10                                  // 
_v_cmpx_eq_u32 s[32:33], v4, s32                   // is thread in edge glvw region
v_and_b32 v0, 63, v[vgprSerial]                    // permute register between threads
v_lshlrev_b32 v0, 2, v0                            // permute register between threads
v_accvgpr_read_b32 v5, acc54                       // glvw 3 mb 5 tt1 0 r 0
v_accvgpr_read_b32 v6, acc23                       // glvw 3 mb 5 tt1 0 r 0
v_accvgpr_read_b32 v7, acc55                       // glvw 3 mb 5 tt1 0 r 0
s_nop 1                                            // v_accvgpr read vgpr after write vgpr: 2 wait states
v_accvgpr_write_b32 acc20, v5                      // 
v_accvgpr_write_b32 acc52, v6                      // 
v_accvgpr_write_b32 acc21, v7                      // 
v_accvgpr_read_b32 v5, acc118                      // glvw 3 mb 5 tt1 1 r 0
v_accvgpr_read_b32 v6, acc87                       // glvw 3 mb 5 tt1 1 r 0
v_accvgpr_read_b32 v7, acc119                      // glvw 3 mb 5 tt1 1 r 0
s_nop 1                                            // v_accvgpr read vgpr after write vgpr: 2 wait states
v_accvgpr_write_b32 acc84, v5                      // 
v_accvgpr_write_b32 acc116, v6                     // 
v_accvgpr_write_b32 acc85, v7                      // 
s_mov_b64 s[32:33], 0xFFFFFFFFFFFFFFFF             // to restore all threads active
s_or_saveexec_b64 vcc, s[32:33]                    // all threads active
s_branch label_0148                                // done shifting


/******************************************/
/* shift d0 r=3 mb=6 vw0                  */
/******************************************/
label_0077: // r3 mb6 vw0 
s_mov_b32 s32, 12                                  // 
_v_cmpx_eq_u32 s[32:33], v4, s32                   // is thread in edge glvw region
v_and_b32 v0, 63, v[vgprSerial]                    // permute register between threads
v_lshlrev_b32 v0, 2, v0                            // permute register between threads
v_accvgpr_read_b32 v5, acc58                       // glvw 3 mb 6 tt1 0 r 0
v_accvgpr_read_b32 v6, acc27                       // glvw 3 mb 6 tt1 0 r 0
v_accvgpr_read_b32 v7, acc59                       // glvw 3 mb 6 tt1 0 r 0
s_nop 1                                            // v_accvgpr read vgpr after write vgpr: 2 wait states
v_accvgpr_write_b32 acc24, v5                      // 
v_accvgpr_write_b32 acc56, v6                      // 
v_accvgpr_write_b32 acc25, v7                      // 
v_accvgpr_read_b32 v5, acc122                      // glvw 3 mb 6 tt1 1 r 0
v_accvgpr_read_b32 v6, acc91                       // glvw 3 mb 6 tt1 1 r 0
v_accvgpr_read_b32 v7, acc123                      // glvw 3 mb 6 tt1 1 r 0
s_nop 1                                            // v_accvgpr read vgpr after write vgpr: 2 wait states
v_accvgpr_write_b32 acc88, v5                      // 
v_accvgpr_write_b32 acc120, v6                     // 
v_accvgpr_write_b32 acc89, v7                      // 
s_mov_b64 s[32:33], 0xFFFFFFFFFFFFFFFF             // to restore all threads active
s_or_saveexec_b64 vcc, s[32:33]                    // all threads active
s_branch label_0148                                // done shifting


/******************************************/
/* shift d0 r=3 mb=7 vw0                  */
/******************************************/
label_0079: // r3 mb7 vw0 
s_mov_b32 s32, 14                                  // 
_v_cmpx_eq_u32 s[32:33], v4, s32                   // is thread in edge glvw region
v_and_b32 v0, 63, v[vgprSerial]                    // permute register between threads
v_lshlrev_b32 v0, 2, v0                            // permute register between threads
v_accvgpr_read_b32 v5, acc62                       // glvw 3 mb 7 tt1 0 r 0
v_accvgpr_read_b32 v6, acc31                       // glvw 3 mb 7 tt1 0 r 0
v_accvgpr_read_b32 v7, acc63                       // glvw 3 mb 7 tt1 0 r 0
s_nop 1                                            // v_accvgpr read vgpr after write vgpr: 2 wait states
v_accvgpr_write_b32 acc28, v5                      // 
v_accvgpr_write_b32 acc60, v6                      // 
v_accvgpr_write_b32 acc29, v7                      // 
v_accvgpr_read_b32 v5, acc126                      // glvw 3 mb 7 tt1 1 r 0
v_accvgpr_read_b32 v6, acc95                       // glvw 3 mb 7 tt1 1 r 0
v_accvgpr_read_b32 v7, acc127                      // glvw 3 mb 7 tt1 1 r 0
s_nop 1                                            // v_accvgpr read vgpr after write vgpr: 2 wait states
v_accvgpr_write_b32 acc92, v5                      // 
v_accvgpr_write_b32 acc124, v6                     // 
v_accvgpr_write_b32 acc93, v7                      // 
s_mov_b64 s[32:33], 0xFFFFFFFFFFFFFFFF             // to restore all threads active
s_or_saveexec_b64 vcc, s[32:33]                    // all threads active
s_branch label_0148                                // done shifting


/******************************************/
/* shift d0 r=4 mb=0 vw0                  */
/******************************************/
label_0082: // r4 mb0 vw0 
s_mov_b32 s32, 0                                   // 
_v_cmpx_eq_u32 s[32:33], v4, s32                   // is thread in edge glvw region
v_and_b32 v0, 63, v[vgprSerial]                    // permute register between threads
v_lshlrev_b32 v0, 2, v0                            // permute register between threads
v_accvgpr_read_b32 v5, acc2                        // glvw 4 mb 0 tt1 0 r 0
v_accvgpr_read_b32 v6, acc34                       // glvw 4 mb 0 tt1 0 r 0
v_accvgpr_read_b32 v7, acc3                        // glvw 4 mb 0 tt1 0 r 0
v_accvgpr_read_b32 v8, acc35                       // glvw 4 mb 0 tt1 0 r 0
s_nop 1                                            // v_accvgpr read vgpr after write vgpr: 2 wait states
v_accvgpr_write_b32 acc0, v5                       // 
v_accvgpr_write_b32 acc32, v6                      // 
v_accvgpr_write_b32 acc1, v7                       // 
v_accvgpr_write_b32 acc33, v8                      // 
v_accvgpr_read_b32 v5, acc66                       // glvw 4 mb 0 tt1 1 r 0
v_accvgpr_read_b32 v6, acc98                       // glvw 4 mb 0 tt1 1 r 0
v_accvgpr_read_b32 v7, acc67                       // glvw 4 mb 0 tt1 1 r 0
v_accvgpr_read_b32 v8, acc99                       // glvw 4 mb 0 tt1 1 r 0
s_nop 1                                            // v_accvgpr read vgpr after write vgpr: 2 wait states
v_accvgpr_write_b32 acc64, v5                      // 
v_accvgpr_write_b32 acc96, v6                      // 
v_accvgpr_write_b32 acc65, v7                      // 
v_accvgpr_write_b32 acc97, v8                      // 
s_mov_b64 s[32:33], 0xFFFFFFFFFFFFFFFF             // to restore all threads active
s_or_saveexec_b64 vcc, s[32:33]                    // all threads active
s_branch label_0148                                // done shifting


/******************************************/
/* shift d0 r=4 mb=1 vw0                  */
/******************************************/
label_0084: // r4 mb1 vw0 
s_mov_b32 s32, 2                                   // 
_v_cmpx_eq_u32 s[32:33], v4, s32                   // is thread in edge glvw region
v_and_b32 v0, 63, v[vgprSerial]                    // permute register between threads
v_lshlrev_b32 v0, 2, v0                            // permute register between threads
v_accvgpr_read_b32 v5, acc6                        // glvw 4 mb 1 tt1 0 r 0
v_accvgpr_read_b32 v6, acc38                       // glvw 4 mb 1 tt1 0 r 0
v_accvgpr_read_b32 v7, acc7                        // glvw 4 mb 1 tt1 0 r 0
v_accvgpr_read_b32 v8, acc39                       // glvw 4 mb 1 tt1 0 r 0
s_nop 1                                            // v_accvgpr read vgpr after write vgpr: 2 wait states
v_accvgpr_write_b32 acc4, v5                       // 
v_accvgpr_write_b32 acc36, v6                      // 
v_accvgpr_write_b32 acc5, v7                       // 
v_accvgpr_write_b32 acc37, v8                      // 
v_accvgpr_read_b32 v5, acc70                       // glvw 4 mb 1 tt1 1 r 0
v_accvgpr_read_b32 v6, acc102                      // glvw 4 mb 1 tt1 1 r 0
v_accvgpr_read_b32 v7, acc71                       // glvw 4 mb 1 tt1 1 r 0
v_accvgpr_read_b32 v8, acc103                      // glvw 4 mb 1 tt1 1 r 0
s_nop 1                                            // v_accvgpr read vgpr after write vgpr: 2 wait states
v_accvgpr_write_b32 acc68, v5                      // 
v_accvgpr_write_b32 acc100, v6                     // 
v_accvgpr_write_b32 acc69, v7                      // 
v_accvgpr_write_b32 acc101, v8                     // 
s_mov_b64 s[32:33], 0xFFFFFFFFFFFFFFFF             // to restore all threads active
s_or_saveexec_b64 vcc, s[32:33]                    // all threads active
s_branch label_0148                                // done shifting


/******************************************/
/* shift d0 r=4 mb=2 vw0                  */
/******************************************/
label_0086: // r4 mb2 vw0 
s_mov_b32 s32, 4                                   // 
_v_cmpx_eq_u32 s[32:33], v4, s32                   // is thread in edge glvw region
v_and_b32 v0, 63, v[vgprSerial]                    // permute register between threads
v_lshlrev_b32 v0, 2, v0                            // permute register between threads
v_accvgpr_read_b32 v5, acc10                       // glvw 4 mb 2 tt1 0 r 0
v_accvgpr_read_b32 v6, acc42                       // glvw 4 mb 2 tt1 0 r 0
v_accvgpr_read_b32 v7, acc11                       // glvw 4 mb 2 tt1 0 r 0
v_accvgpr_read_b32 v8, acc43                       // glvw 4 mb 2 tt1 0 r 0
s_nop 1                                            // v_accvgpr read vgpr after write vgpr: 2 wait states
v_accvgpr_write_b32 acc8, v5                       // 
v_accvgpr_write_b32 acc40, v6                      // 
v_accvgpr_write_b32 acc9, v7                       // 
v_accvgpr_write_b32 acc41, v8                      // 
v_accvgpr_read_b32 v5, acc74                       // glvw 4 mb 2 tt1 1 r 0
v_accvgpr_read_b32 v6, acc106                      // glvw 4 mb 2 tt1 1 r 0
v_accvgpr_read_b32 v7, acc75                       // glvw 4 mb 2 tt1 1 r 0
v_accvgpr_read_b32 v8, acc107                      // glvw 4 mb 2 tt1 1 r 0
s_nop 1                                            // v_accvgpr read vgpr after write vgpr: 2 wait states
v_accvgpr_write_b32 acc72, v5                      // 
v_accvgpr_write_b32 acc104, v6                     // 
v_accvgpr_write_b32 acc73, v7                      // 
v_accvgpr_write_b32 acc105, v8                     // 
s_mov_b64 s[32:33], 0xFFFFFFFFFFFFFFFF             // to restore all threads active
s_or_saveexec_b64 vcc, s[32:33]                    // all threads active
s_branch label_0148                                // done shifting


/******************************************/
/* shift d0 r=4 mb=3 vw0                  */
/******************************************/
label_0088: // r4 mb3 vw0 
s_mov_b32 s32, 6                                   // 
_v_cmpx_eq_u32 s[32:33], v4, s32                   // is thread in edge glvw region
v_and_b32 v0, 63, v[vgprSerial]                    // permute register between threads
v_lshlrev_b32 v0, 2, v0                            // permute register between threads
v_accvgpr_read_b32 v5, acc14                       // glvw 4 mb 3 tt1 0 r 0
v_accvgpr_read_b32 v6, acc46                       // glvw 4 mb 3 tt1 0 r 0
v_accvgpr_read_b32 v7, acc15                       // glvw 4 mb 3 tt1 0 r 0
v_accvgpr_read_b32 v8, acc47                       // glvw 4 mb 3 tt1 0 r 0
s_nop 1                                            // v_accvgpr read vgpr after write vgpr: 2 wait states
v_accvgpr_write_b32 acc12, v5                      // 
v_accvgpr_write_b32 acc44, v6                      // 
v_accvgpr_write_b32 acc13, v7                      // 
v_accvgpr_write_b32 acc45, v8                      // 
v_accvgpr_read_b32 v5, acc78                       // glvw 4 mb 3 tt1 1 r 0
v_accvgpr_read_b32 v6, acc110                      // glvw 4 mb 3 tt1 1 r 0
v_accvgpr_read_b32 v7, acc79                       // glvw 4 mb 3 tt1 1 r 0
v_accvgpr_read_b32 v8, acc111                      // glvw 4 mb 3 tt1 1 r 0
s_nop 1                                            // v_accvgpr read vgpr after write vgpr: 2 wait states
v_accvgpr_write_b32 acc76, v5                      // 
v_accvgpr_write_b32 acc108, v6                     // 
v_accvgpr_write_b32 acc77, v7                      // 
v_accvgpr_write_b32 acc109, v8                     // 
s_mov_b64 s[32:33], 0xFFFFFFFFFFFFFFFF             // to restore all threads active
s_or_saveexec_b64 vcc, s[32:33]                    // all threads active
s_branch label_0148                                // done shifting


/******************************************/
/* shift d0 r=4 mb=4 vw0                  */
/******************************************/
label_0090: // r4 mb4 vw0 
s_mov_b32 s32, 8                                   // 
_v_cmpx_eq_u32 s[32:33], v4, s32                   // is thread in edge glvw region
v_and_b32 v0, 63, v[vgprSerial]                    // permute register between threads
v_lshlrev_b32 v0, 2, v0                            // permute register between threads
v_accvgpr_read_b32 v5, acc18                       // glvw 4 mb 4 tt1 0 r 0
v_accvgpr_read_b32 v6, acc50                       // glvw 4 mb 4 tt1 0 r 0
v_accvgpr_read_b32 v7, acc19                       // glvw 4 mb 4 tt1 0 r 0
v_accvgpr_read_b32 v8, acc51                       // glvw 4 mb 4 tt1 0 r 0
s_nop 1                                            // v_accvgpr read vgpr after write vgpr: 2 wait states
v_accvgpr_write_b32 acc16, v5                      // 
v_accvgpr_write_b32 acc48, v6                      // 
v_accvgpr_write_b32 acc17, v7                      // 
v_accvgpr_write_b32 acc49, v8                      // 
v_accvgpr_read_b32 v5, acc82                       // glvw 4 mb 4 tt1 1 r 0
v_accvgpr_read_b32 v6, acc114                      // glvw 4 mb 4 tt1 1 r 0
v_accvgpr_read_b32 v7, acc83                       // glvw 4 mb 4 tt1 1 r 0
v_accvgpr_read_b32 v8, acc115                      // glvw 4 mb 4 tt1 1 r 0
s_nop 1                                            // v_accvgpr read vgpr after write vgpr: 2 wait states
v_accvgpr_write_b32 acc80, v5                      // 
v_accvgpr_write_b32 acc112, v6                     // 
v_accvgpr_write_b32 acc81, v7                      // 
v_accvgpr_write_b32 acc113, v8                     // 
s_mov_b64 s[32:33], 0xFFFFFFFFFFFFFFFF             // to restore all threads active
s_or_saveexec_b64 vcc, s[32:33]                    // all threads active
s_branch label_0148                                // done shifting


/******************************************/
/* shift d0 r=4 mb=5 vw0                  */
/******************************************/
label_0092: // r4 mb5 vw0 
s_mov_b32 s32, 10                                  // 
_v_cmpx_eq_u32 s[32:33], v4, s32                   // is thread in edge glvw region
v_and_b32 v0, 63, v[vgprSerial]                    // permute register between threads
v_lshlrev_b32 v0, 2, v0                            // permute register between threads
v_accvgpr_read_b32 v5, acc22                       // glvw 4 mb 5 tt1 0 r 0
v_accvgpr_read_b32 v6, acc54                       // glvw 4 mb 5 tt1 0 r 0
v_accvgpr_read_b32 v7, acc23                       // glvw 4 mb 5 tt1 0 r 0
v_accvgpr_read_b32 v8, acc55                       // glvw 4 mb 5 tt1 0 r 0
s_nop 1                                            // v_accvgpr read vgpr after write vgpr: 2 wait states
v_accvgpr_write_b32 acc20, v5                      // 
v_accvgpr_write_b32 acc52, v6                      // 
v_accvgpr_write_b32 acc21, v7                      // 
v_accvgpr_write_b32 acc53, v8                      // 
v_accvgpr_read_b32 v5, acc86                       // glvw 4 mb 5 tt1 1 r 0
v_accvgpr_read_b32 v6, acc118                      // glvw 4 mb 5 tt1 1 r 0
v_accvgpr_read_b32 v7, acc87                       // glvw 4 mb 5 tt1 1 r 0
v_accvgpr_read_b32 v8, acc119                      // glvw 4 mb 5 tt1 1 r 0
s_nop 1                                            // v_accvgpr read vgpr after write vgpr: 2 wait states
v_accvgpr_write_b32 acc84, v5                      // 
v_accvgpr_write_b32 acc116, v6                     // 
v_accvgpr_write_b32 acc85, v7                      // 
v_accvgpr_write_b32 acc117, v8                     // 
s_mov_b64 s[32:33], 0xFFFFFFFFFFFFFFFF             // to restore all threads active
s_or_saveexec_b64 vcc, s[32:33]                    // all threads active
s_branch label_0148                                // done shifting


/******************************************/
/* shift d0 r=4 mb=6 vw0                  */
/******************************************/
label_0094: // r4 mb6 vw0 
s_mov_b32 s32, 12                                  // 
_v_cmpx_eq_u32 s[32:33], v4, s32                   // is thread in edge glvw region
v_and_b32 v0, 63, v[vgprSerial]                    // permute register between threads
v_lshlrev_b32 v0, 2, v0                            // permute register between threads
v_accvgpr_read_b32 v5, acc26                       // glvw 4 mb 6 tt1 0 r 0
v_accvgpr_read_b32 v6, acc58                       // glvw 4 mb 6 tt1 0 r 0
v_accvgpr_read_b32 v7, acc27                       // glvw 4 mb 6 tt1 0 r 0
v_accvgpr_read_b32 v8, acc59                       // glvw 4 mb 6 tt1 0 r 0
s_nop 1                                            // v_accvgpr read vgpr after write vgpr: 2 wait states
v_accvgpr_write_b32 acc24, v5                      // 
v_accvgpr_write_b32 acc56, v6                      // 
v_accvgpr_write_b32 acc25, v7                      // 
v_accvgpr_write_b32 acc57, v8                      // 
v_accvgpr_read_b32 v5, acc90                       // glvw 4 mb 6 tt1 1 r 0
v_accvgpr_read_b32 v6, acc122                      // glvw 4 mb 6 tt1 1 r 0
v_accvgpr_read_b32 v7, acc91                       // glvw 4 mb 6 tt1 1 r 0
v_accvgpr_read_b32 v8, acc123                      // glvw 4 mb 6 tt1 1 r 0
s_nop 1                                            // v_accvgpr read vgpr after write vgpr: 2 wait states
v_accvgpr_write_b32 acc88, v5                      // 
v_accvgpr_write_b32 acc120, v6                     // 
v_accvgpr_write_b32 acc89, v7                      // 
v_accvgpr_write_b32 acc121, v8                     // 
s_mov_b64 s[32:33], 0xFFFFFFFFFFFFFFFF             // to restore all threads active
s_or_saveexec_b64 vcc, s[32:33]                    // all threads active
s_branch label_0148                                // done shifting


/******************************************/
/* shift d0 r=4 mb=7 vw0                  */
/******************************************/
label_0096: // r4 mb7 vw0 
s_mov_b32 s32, 14                                  // 
_v_cmpx_eq_u32 s[32:33], v4, s32                   // is thread in edge glvw region
v_and_b32 v0, 63, v[vgprSerial]                    // permute register between threads
v_lshlrev_b32 v0, 2, v0                            // permute register between threads
v_accvgpr_read_b32 v5, acc30                       // glvw 4 mb 7 tt1 0 r 0
v_accvgpr_read_b32 v6, acc62                       // glvw 4 mb 7 tt1 0 r 0
v_accvgpr_read_b32 v7, acc31                       // glvw 4 mb 7 tt1 0 r 0
v_accvgpr_read_b32 v8, acc63                       // glvw 4 mb 7 tt1 0 r 0
s_nop 1                                            // v_accvgpr read vgpr after write vgpr: 2 wait states
v_accvgpr_write_b32 acc28, v5                      // 
v_accvgpr_write_b32 acc60, v6                      // 
v_accvgpr_write_b32 acc29, v7                      // 
v_accvgpr_write_b32 acc61, v8                      // 
v_accvgpr_read_b32 v5, acc94                       // glvw 4 mb 7 tt1 1 r 0
v_accvgpr_read_b32 v6, acc126                      // glvw 4 mb 7 tt1 1 r 0
v_accvgpr_read_b32 v7, acc95                       // glvw 4 mb 7 tt1 1 r 0
v_accvgpr_read_b32 v8, acc127                      // glvw 4 mb 7 tt1 1 r 0
s_nop 1                                            // v_accvgpr read vgpr after write vgpr: 2 wait states
v_accvgpr_write_b32 acc92, v5                      // 
v_accvgpr_write_b32 acc124, v6                     // 
v_accvgpr_write_b32 acc93, v7                      // 
v_accvgpr_write_b32 acc125, v8                     // 
s_mov_b64 s[32:33], 0xFFFFFFFFFFFFFFFF             // to restore all threads active
s_or_saveexec_b64 vcc, s[32:33]                    // all threads active
s_branch label_0148                                // done shifting


/******************************************/
/* shift d0 r=5 mb=0 vw0                  */
/******************************************/
label_0099: // r5 mb0 vw0 
s_mov_b32 s32, 0                                   // 
_v_cmpx_eq_u32 s[32:33], v4, s32                   // is thread in edge glvw region
v_and_b32 v0, 63, v[vgprSerial]                    // permute register between threads
v_lshlrev_b32 v0, 2, v0                            // permute register between threads
v_accvgpr_read_b32 v5, acc33                       // glvw 5 mb 0 tt1 0 r 0
v_accvgpr_read_b32 v6, acc2                        // glvw 5 mb 0 tt1 0 r 0
v_accvgpr_read_b32 v7, acc34                       // glvw 5 mb 0 tt1 0 r 0
v_accvgpr_read_b32 v8, acc3                        // glvw 5 mb 0 tt1 0 r 0
v_accvgpr_read_b32 v9, acc35                       // glvw 5 mb 0 tt1 0 r 0
s_nop 1                                            // v_accvgpr read vgpr after write vgpr: 2 wait states
v_accvgpr_write_b32 acc0, v5                       // 
v_accvgpr_write_b32 acc32, v6                      // 
v_accvgpr_write_b32 acc1, v7                       // 
v_accvgpr_write_b32 acc33, v8                      // 
v_accvgpr_write_b32 acc2, v9                       // 
v_accvgpr_read_b32 v5, acc97                       // glvw 5 mb 0 tt1 1 r 0
v_accvgpr_read_b32 v6, acc66                       // glvw 5 mb 0 tt1 1 r 0
v_accvgpr_read_b32 v7, acc98                       // glvw 5 mb 0 tt1 1 r 0
v_accvgpr_read_b32 v8, acc67                       // glvw 5 mb 0 tt1 1 r 0
v_accvgpr_read_b32 v9, acc99                       // glvw 5 mb 0 tt1 1 r 0
s_nop 1                                            // v_accvgpr read vgpr after write vgpr: 2 wait states
v_accvgpr_write_b32 acc64, v5                      // 
v_accvgpr_write_b32 acc96, v6                      // 
v_accvgpr_write_b32 acc65, v7                      // 
v_accvgpr_write_b32 acc97, v8                      // 
v_accvgpr_write_b32 acc66, v9                      // 
s_mov_b64 s[32:33], 0xFFFFFFFFFFFFFFFF             // to restore all threads active
s_or_saveexec_b64 vcc, s[32:33]                    // all threads active
s_branch label_0148                                // done shifting


/******************************************/
/* shift d0 r=5 mb=1 vw0                  */
/******************************************/
label_0101: // r5 mb1 vw0 
s_mov_b32 s32, 2                                   // 
_v_cmpx_eq_u32 s[32:33], v4, s32                   // is thread in edge glvw region
v_and_b32 v0, 63, v[vgprSerial]                    // permute register between threads
v_lshlrev_b32 v0, 2, v0                            // permute register between threads
v_accvgpr_read_b32 v5, acc37                       // glvw 5 mb 1 tt1 0 r 0
v_accvgpr_read_b32 v6, acc6                        // glvw 5 mb 1 tt1 0 r 0
v_accvgpr_read_b32 v7, acc38                       // glvw 5 mb 1 tt1 0 r 0
v_accvgpr_read_b32 v8, acc7                        // glvw 5 mb 1 tt1 0 r 0
v_accvgpr_read_b32 v9, acc39                       // glvw 5 mb 1 tt1 0 r 0
s_nop 1                                            // v_accvgpr read vgpr after write vgpr: 2 wait states
v_accvgpr_write_b32 acc4, v5                       // 
v_accvgpr_write_b32 acc36, v6                      // 
v_accvgpr_write_b32 acc5, v7                       // 
v_accvgpr_write_b32 acc37, v8                      // 
v_accvgpr_write_b32 acc6, v9                       // 
v_accvgpr_read_b32 v5, acc101                      // glvw 5 mb 1 tt1 1 r 0
v_accvgpr_read_b32 v6, acc70                       // glvw 5 mb 1 tt1 1 r 0
v_accvgpr_read_b32 v7, acc102                      // glvw 5 mb 1 tt1 1 r 0
v_accvgpr_read_b32 v8, acc71                       // glvw 5 mb 1 tt1 1 r 0
v_accvgpr_read_b32 v9, acc103                      // glvw 5 mb 1 tt1 1 r 0
s_nop 1                                            // v_accvgpr read vgpr after write vgpr: 2 wait states
v_accvgpr_write_b32 acc68, v5                      // 
v_accvgpr_write_b32 acc100, v6                     // 
v_accvgpr_write_b32 acc69, v7                      // 
v_accvgpr_write_b32 acc101, v8                     // 
v_accvgpr_write_b32 acc70, v9                      // 
s_mov_b64 s[32:33], 0xFFFFFFFFFFFFFFFF             // to restore all threads active
s_or_saveexec_b64 vcc, s[32:33]                    // all threads active
s_branch label_0148                                // done shifting


/******************************************/
/* shift d0 r=5 mb=2 vw0                  */
/******************************************/
label_0103: // r5 mb2 vw0 
s_mov_b32 s32, 4                                   // 
_v_cmpx_eq_u32 s[32:33], v4, s32                   // is thread in edge glvw region
v_and_b32 v0, 63, v[vgprSerial]                    // permute register between threads
v_lshlrev_b32 v0, 2, v0                            // permute register between threads
v_accvgpr_read_b32 v5, acc41                       // glvw 5 mb 2 tt1 0 r 0
v_accvgpr_read_b32 v6, acc10                       // glvw 5 mb 2 tt1 0 r 0
v_accvgpr_read_b32 v7, acc42                       // glvw 5 mb 2 tt1 0 r 0
v_accvgpr_read_b32 v8, acc11                       // glvw 5 mb 2 tt1 0 r 0
v_accvgpr_read_b32 v9, acc43                       // glvw 5 mb 2 tt1 0 r 0
s_nop 1                                            // v_accvgpr read vgpr after write vgpr: 2 wait states
v_accvgpr_write_b32 acc8, v5                       // 
v_accvgpr_write_b32 acc40, v6                      // 
v_accvgpr_write_b32 acc9, v7                       // 
v_accvgpr_write_b32 acc41, v8                      // 
v_accvgpr_write_b32 acc10, v9                      // 
v_accvgpr_read_b32 v5, acc105                      // glvw 5 mb 2 tt1 1 r 0
v_accvgpr_read_b32 v6, acc74                       // glvw 5 mb 2 tt1 1 r 0
v_accvgpr_read_b32 v7, acc106                      // glvw 5 mb 2 tt1 1 r 0
v_accvgpr_read_b32 v8, acc75                       // glvw 5 mb 2 tt1 1 r 0
v_accvgpr_read_b32 v9, acc107                      // glvw 5 mb 2 tt1 1 r 0
s_nop 1                                            // v_accvgpr read vgpr after write vgpr: 2 wait states
v_accvgpr_write_b32 acc72, v5                      // 
v_accvgpr_write_b32 acc104, v6                     // 
v_accvgpr_write_b32 acc73, v7                      // 
v_accvgpr_write_b32 acc105, v8                     // 
v_accvgpr_write_b32 acc74, v9                      // 
s_mov_b64 s[32:33], 0xFFFFFFFFFFFFFFFF             // to restore all threads active
s_or_saveexec_b64 vcc, s[32:33]                    // all threads active
s_branch label_0148                                // done shifting


/******************************************/
/* shift d0 r=5 mb=3 vw0                  */
/******************************************/
label_0105: // r5 mb3 vw0 
s_mov_b32 s32, 6                                   // 
_v_cmpx_eq_u32 s[32:33], v4, s32                   // is thread in edge glvw region
v_and_b32 v0, 63, v[vgprSerial]                    // permute register between threads
v_lshlrev_b32 v0, 2, v0                            // permute register between threads
v_accvgpr_read_b32 v5, acc45                       // glvw 5 mb 3 tt1 0 r 0
v_accvgpr_read_b32 v6, acc14                       // glvw 5 mb 3 tt1 0 r 0
v_accvgpr_read_b32 v7, acc46                       // glvw 5 mb 3 tt1 0 r 0
v_accvgpr_read_b32 v8, acc15                       // glvw 5 mb 3 tt1 0 r 0
v_accvgpr_read_b32 v9, acc47                       // glvw 5 mb 3 tt1 0 r 0
s_nop 1                                            // v_accvgpr read vgpr after write vgpr: 2 wait states
v_accvgpr_write_b32 acc12, v5                      // 
v_accvgpr_write_b32 acc44, v6                      // 
v_accvgpr_write_b32 acc13, v7                      // 
v_accvgpr_write_b32 acc45, v8                      // 
v_accvgpr_write_b32 acc14, v9                      // 
v_accvgpr_read_b32 v5, acc109                      // glvw 5 mb 3 tt1 1 r 0
v_accvgpr_read_b32 v6, acc78                       // glvw 5 mb 3 tt1 1 r 0
v_accvgpr_read_b32 v7, acc110                      // glvw 5 mb 3 tt1 1 r 0
v_accvgpr_read_b32 v8, acc79                       // glvw 5 mb 3 tt1 1 r 0
v_accvgpr_read_b32 v9, acc111                      // glvw 5 mb 3 tt1 1 r 0
s_nop 1                                            // v_accvgpr read vgpr after write vgpr: 2 wait states
v_accvgpr_write_b32 acc76, v5                      // 
v_accvgpr_write_b32 acc108, v6                     // 
v_accvgpr_write_b32 acc77, v7                      // 
v_accvgpr_write_b32 acc109, v8                     // 
v_accvgpr_write_b32 acc78, v9                      // 
s_mov_b64 s[32:33], 0xFFFFFFFFFFFFFFFF             // to restore all threads active
s_or_saveexec_b64 vcc, s[32:33]                    // all threads active
s_branch label_0148                                // done shifting


/******************************************/
/* shift d0 r=5 mb=4 vw0                  */
/******************************************/
label_0107: // r5 mb4 vw0 
s_mov_b32 s32, 8                                   // 
_v_cmpx_eq_u32 s[32:33], v4, s32                   // is thread in edge glvw region
v_and_b32 v0, 63, v[vgprSerial]                    // permute register between threads
v_lshlrev_b32 v0, 2, v0                            // permute register between threads
v_accvgpr_read_b32 v5, acc49                       // glvw 5 mb 4 tt1 0 r 0
v_accvgpr_read_b32 v6, acc18                       // glvw 5 mb 4 tt1 0 r 0
v_accvgpr_read_b32 v7, acc50                       // glvw 5 mb 4 tt1 0 r 0
v_accvgpr_read_b32 v8, acc19                       // glvw 5 mb 4 tt1 0 r 0
v_accvgpr_read_b32 v9, acc51                       // glvw 5 mb 4 tt1 0 r 0
s_nop 1                                            // v_accvgpr read vgpr after write vgpr: 2 wait states
v_accvgpr_write_b32 acc16, v5                      // 
v_accvgpr_write_b32 acc48, v6                      // 
v_accvgpr_write_b32 acc17, v7                      // 
v_accvgpr_write_b32 acc49, v8                      // 
v_accvgpr_write_b32 acc18, v9                      // 
v_accvgpr_read_b32 v5, acc113                      // glvw 5 mb 4 tt1 1 r 0
v_accvgpr_read_b32 v6, acc82                       // glvw 5 mb 4 tt1 1 r 0
v_accvgpr_read_b32 v7, acc114                      // glvw 5 mb 4 tt1 1 r 0
v_accvgpr_read_b32 v8, acc83                       // glvw 5 mb 4 tt1 1 r 0
v_accvgpr_read_b32 v9, acc115                      // glvw 5 mb 4 tt1 1 r 0
s_nop 1                                            // v_accvgpr read vgpr after write vgpr: 2 wait states
v_accvgpr_write_b32 acc80, v5                      // 
v_accvgpr_write_b32 acc112, v6                     // 
v_accvgpr_write_b32 acc81, v7                      // 
v_accvgpr_write_b32 acc113, v8                     // 
v_accvgpr_write_b32 acc82, v9                      // 
s_mov_b64 s[32:33], 0xFFFFFFFFFFFFFFFF             // to restore all threads active
s_or_saveexec_b64 vcc, s[32:33]                    // all threads active
s_branch label_0148                                // done shifting


/******************************************/
/* shift d0 r=5 mb=5 vw0                  */
/******************************************/
label_0109: // r5 mb5 vw0 
s_mov_b32 s32, 10                                  // 
_v_cmpx_eq_u32 s[32:33], v4, s32                   // is thread in edge glvw region
v_and_b32 v0, 63, v[vgprSerial]                    // permute register between threads
v_lshlrev_b32 v0, 2, v0                            // permute register between threads
v_accvgpr_read_b32 v5, acc53                       // glvw 5 mb 5 tt1 0 r 0
v_accvgpr_read_b32 v6, acc22                       // glvw 5 mb 5 tt1 0 r 0
v_accvgpr_read_b32 v7, acc54                       // glvw 5 mb 5 tt1 0 r 0
v_accvgpr_read_b32 v8, acc23                       // glvw 5 mb 5 tt1 0 r 0
v_accvgpr_read_b32 v9, acc55                       // glvw 5 mb 5 tt1 0 r 0
s_nop 1                                            // v_accvgpr read vgpr after write vgpr: 2 wait states
v_accvgpr_write_b32 acc20, v5                      // 
v_accvgpr_write_b32 acc52, v6                      // 
v_accvgpr_write_b32 acc21, v7                      // 
v_accvgpr_write_b32 acc53, v8                      // 
v_accvgpr_write_b32 acc22, v9                      // 
v_accvgpr_read_b32 v5, acc117                      // glvw 5 mb 5 tt1 1 r 0
v_accvgpr_read_b32 v6, acc86                       // glvw 5 mb 5 tt1 1 r 0
v_accvgpr_read_b32 v7, acc118                      // glvw 5 mb 5 tt1 1 r 0
v_accvgpr_read_b32 v8, acc87                       // glvw 5 mb 5 tt1 1 r 0
v_accvgpr_read_b32 v9, acc119                      // glvw 5 mb 5 tt1 1 r 0
s_nop 1                                            // v_accvgpr read vgpr after write vgpr: 2 wait states
v_accvgpr_write_b32 acc84, v5                      // 
v_accvgpr_write_b32 acc116, v6                     // 
v_accvgpr_write_b32 acc85, v7                      // 
v_accvgpr_write_b32 acc117, v8                     // 
v_accvgpr_write_b32 acc86, v9                      // 
s_mov_b64 s[32:33], 0xFFFFFFFFFFFFFFFF             // to restore all threads active
s_or_saveexec_b64 vcc, s[32:33]                    // all threads active
s_branch label_0148                                // done shifting


/******************************************/
/* shift d0 r=5 mb=6 vw0                  */
/******************************************/
label_0111: // r5 mb6 vw0 
s_mov_b32 s32, 12                                  // 
_v_cmpx_eq_u32 s[32:33], v4, s32                   // is thread in edge glvw region
v_and_b32 v0, 63, v[vgprSerial]                    // permute register between threads
v_lshlrev_b32 v0, 2, v0                            // permute register between threads
v_accvgpr_read_b32 v5, acc57                       // glvw 5 mb 6 tt1 0 r 0
v_accvgpr_read_b32 v6, acc26                       // glvw 5 mb 6 tt1 0 r 0
v_accvgpr_read_b32 v7, acc58                       // glvw 5 mb 6 tt1 0 r 0
v_accvgpr_read_b32 v8, acc27                       // glvw 5 mb 6 tt1 0 r 0
v_accvgpr_read_b32 v9, acc59                       // glvw 5 mb 6 tt1 0 r 0
s_nop 1                                            // v_accvgpr read vgpr after write vgpr: 2 wait states
v_accvgpr_write_b32 acc24, v5                      // 
v_accvgpr_write_b32 acc56, v6                      // 
v_accvgpr_write_b32 acc25, v7                      // 
v_accvgpr_write_b32 acc57, v8                      // 
v_accvgpr_write_b32 acc26, v9                      // 
v_accvgpr_read_b32 v5, acc121                      // glvw 5 mb 6 tt1 1 r 0
v_accvgpr_read_b32 v6, acc90                       // glvw 5 mb 6 tt1 1 r 0
v_accvgpr_read_b32 v7, acc122                      // glvw 5 mb 6 tt1 1 r 0
v_accvgpr_read_b32 v8, acc91                       // glvw 5 mb 6 tt1 1 r 0
v_accvgpr_read_b32 v9, acc123                      // glvw 5 mb 6 tt1 1 r 0
s_nop 1                                            // v_accvgpr read vgpr after write vgpr: 2 wait states
v_accvgpr_write_b32 acc88, v5                      // 
v_accvgpr_write_b32 acc120, v6                     // 
v_accvgpr_write_b32 acc89, v7                      // 
v_accvgpr_write_b32 acc121, v8                     // 
v_accvgpr_write_b32 acc90, v9                      // 
s_mov_b64 s[32:33], 0xFFFFFFFFFFFFFFFF             // to restore all threads active
s_or_saveexec_b64 vcc, s[32:33]                    // all threads active
s_branch label_0148                                // done shifting


/******************************************/
/* shift d0 r=5 mb=7 vw0                  */
/******************************************/
label_0113: // r5 mb7 vw0 
s_mov_b32 s32, 14                                  // 
_v_cmpx_eq_u32 s[32:33], v4, s32                   // is thread in edge glvw region
v_and_b32 v0, 63, v[vgprSerial]                    // permute register between threads
v_lshlrev_b32 v0, 2, v0                            // permute register between threads
v_accvgpr_read_b32 v5, acc61                       // glvw 5 mb 7 tt1 0 r 0
v_accvgpr_read_b32 v6, acc30                       // glvw 5 mb 7 tt1 0 r 0
v_accvgpr_read_b32 v7, acc62                       // glvw 5 mb 7 tt1 0 r 0
v_accvgpr_read_b32 v8, acc31                       // glvw 5 mb 7 tt1 0 r 0
v_accvgpr_read_b32 v9, acc63                       // glvw 5 mb 7 tt1 0 r 0
s_nop 1                                            // v_accvgpr read vgpr after write vgpr: 2 wait states
v_accvgpr_write_b32 acc28, v5                      // 
v_accvgpr_write_b32 acc60, v6                      // 
v_accvgpr_write_b32 acc29, v7                      // 
v_accvgpr_write_b32 acc61, v8                      // 
v_accvgpr_write_b32 acc30, v9                      // 
v_accvgpr_read_b32 v5, acc125                      // glvw 5 mb 7 tt1 1 r 0
v_accvgpr_read_b32 v6, acc94                       // glvw 5 mb 7 tt1 1 r 0
v_accvgpr_read_b32 v7, acc126                      // glvw 5 mb 7 tt1 1 r 0
v_accvgpr_read_b32 v8, acc95                       // glvw 5 mb 7 tt1 1 r 0
v_accvgpr_read_b32 v9, acc127                      // glvw 5 mb 7 tt1 1 r 0
s_nop 1                                            // v_accvgpr read vgpr after write vgpr: 2 wait states
v_accvgpr_write_b32 acc92, v5                      // 
v_accvgpr_write_b32 acc124, v6                     // 
v_accvgpr_write_b32 acc93, v7                      // 
v_accvgpr_write_b32 acc125, v8                     // 
v_accvgpr_write_b32 acc94, v9                      // 
s_mov_b64 s[32:33], 0xFFFFFFFFFFFFFFFF             // to restore all threads active
s_or_saveexec_b64 vcc, s[32:33]                    // all threads active
s_branch label_0148                                // done shifting


/******************************************/
/* shift d0 r=6 mb=0 vw0                  */
/******************************************/
label_0116: // r6 mb0 vw0 
s_mov_b32 s32, 0                                   // 
_v_cmpx_eq_u32 s[32:33], v4, s32                   // is thread in edge glvw region
v_and_b32 v0, 63, v[vgprSerial]                    // permute register between threads
v_lshlrev_b32 v0, 2, v0                            // permute register between threads
v_accvgpr_read_b32 v5, acc1                        // glvw 6 mb 0 tt1 0 r 0
v_accvgpr_read_b32 v6, acc33                       // glvw 6 mb 0 tt1 0 r 0
v_accvgpr_read_b32 v7, acc2                        // glvw 6 mb 0 tt1 0 r 0
v_accvgpr_read_b32 v8, acc34                       // glvw 6 mb 0 tt1 0 r 0
v_accvgpr_read_b32 v9, acc3                        // glvw 6 mb 0 tt1 0 r 0
v_accvgpr_read_b32 v10, acc35                      // glvw 6 mb 0 tt1 0 r 0
s_nop 1                                            // v_accvgpr read vgpr after write vgpr: 2 wait states
v_accvgpr_write_b32 acc0, v5                       // 
v_accvgpr_write_b32 acc32, v6                      // 
v_accvgpr_write_b32 acc1, v7                       // 
v_accvgpr_write_b32 acc33, v8                      // 
v_accvgpr_write_b32 acc2, v9                       // 
v_accvgpr_write_b32 acc34, v10                     // 
v_accvgpr_read_b32 v5, acc65                       // glvw 6 mb 0 tt1 1 r 0
v_accvgpr_read_b32 v6, acc97                       // glvw 6 mb 0 tt1 1 r 0
v_accvgpr_read_b32 v7, acc66                       // glvw 6 mb 0 tt1 1 r 0
v_accvgpr_read_b32 v8, acc98                       // glvw 6 mb 0 tt1 1 r 0
v_accvgpr_read_b32 v9, acc67                       // glvw 6 mb 0 tt1 1 r 0
v_accvgpr_read_b32 v10, acc99                      // glvw 6 mb 0 tt1 1 r 0
s_nop 1                                            // v_accvgpr read vgpr after write vgpr: 2 wait states
v_accvgpr_write_b32 acc64, v5                      // 
v_accvgpr_write_b32 acc96, v6                      // 
v_accvgpr_write_b32 acc65, v7                      // 
v_accvgpr_write_b32 acc97, v8                      // 
v_accvgpr_write_b32 acc66, v9                      // 
v_accvgpr_write_b32 acc98, v10                     // 
s_mov_b64 s[32:33], 0xFFFFFFFFFFFFFFFF             // to restore all threads active
s_or_saveexec_b64 vcc, s[32:33]                    // all threads active
s_branch label_0148                                // done shifting


/******************************************/
/* shift d0 r=6 mb=1 vw0                  */
/******************************************/
label_0118: // r6 mb1 vw0 
s_mov_b32 s32, 2                                   // 
_v_cmpx_eq_u32 s[32:33], v4, s32                   // is thread in edge glvw region
v_and_b32 v0, 63, v[vgprSerial]                    // permute register between threads
v_lshlrev_b32 v0, 2, v0                            // permute register between threads
v_accvgpr_read_b32 v5, acc5                        // glvw 6 mb 1 tt1 0 r 0
v_accvgpr_read_b32 v6, acc37                       // glvw 6 mb 1 tt1 0 r 0
v_accvgpr_read_b32 v7, acc6                        // glvw 6 mb 1 tt1 0 r 0
v_accvgpr_read_b32 v8, acc38                       // glvw 6 mb 1 tt1 0 r 0
v_accvgpr_read_b32 v9, acc7                        // glvw 6 mb 1 tt1 0 r 0
v_accvgpr_read_b32 v10, acc39                      // glvw 6 mb 1 tt1 0 r 0
s_nop 1                                            // v_accvgpr read vgpr after write vgpr: 2 wait states
v_accvgpr_write_b32 acc4, v5                       // 
v_accvgpr_write_b32 acc36, v6                      // 
v_accvgpr_write_b32 acc5, v7                       // 
v_accvgpr_write_b32 acc37, v8                      // 
v_accvgpr_write_b32 acc6, v9                       // 
v_accvgpr_write_b32 acc38, v10                     // 
v_accvgpr_read_b32 v5, acc69                       // glvw 6 mb 1 tt1 1 r 0
v_accvgpr_read_b32 v6, acc101                      // glvw 6 mb 1 tt1 1 r 0
v_accvgpr_read_b32 v7, acc70                       // glvw 6 mb 1 tt1 1 r 0
v_accvgpr_read_b32 v8, acc102                      // glvw 6 mb 1 tt1 1 r 0
v_accvgpr_read_b32 v9, acc71                       // glvw 6 mb 1 tt1 1 r 0
v_accvgpr_read_b32 v10, acc103                     // glvw 6 mb 1 tt1 1 r 0
s_nop 1                                            // v_accvgpr read vgpr after write vgpr: 2 wait states
v_accvgpr_write_b32 acc68, v5                      // 
v_accvgpr_write_b32 acc100, v6                     // 
v_accvgpr_write_b32 acc69, v7                      // 
v_accvgpr_write_b32 acc101, v8                     // 
v_accvgpr_write_b32 acc70, v9                      // 
v_accvgpr_write_b32 acc102, v10                    // 
s_mov_b64 s[32:33], 0xFFFFFFFFFFFFFFFF             // to restore all threads active
s_or_saveexec_b64 vcc, s[32:33]                    // all threads active
s_branch label_0148                                // done shifting


/******************************************/
/* shift d0 r=6 mb=2 vw0                  */
/******************************************/
label_0120: // r6 mb2 vw0 
s_mov_b32 s32, 4                                   // 
_v_cmpx_eq_u32 s[32:33], v4, s32                   // is thread in edge glvw region
v_and_b32 v0, 63, v[vgprSerial]                    // permute register between threads
v_lshlrev_b32 v0, 2, v0                            // permute register between threads
v_accvgpr_read_b32 v5, acc9                        // glvw 6 mb 2 tt1 0 r 0
v_accvgpr_read_b32 v6, acc41                       // glvw 6 mb 2 tt1 0 r 0
v_accvgpr_read_b32 v7, acc10                       // glvw 6 mb 2 tt1 0 r 0
v_accvgpr_read_b32 v8, acc42                       // glvw 6 mb 2 tt1 0 r 0
v_accvgpr_read_b32 v9, acc11                       // glvw 6 mb 2 tt1 0 r 0
v_accvgpr_read_b32 v10, acc43                      // glvw 6 mb 2 tt1 0 r 0
s_nop 1                                            // v_accvgpr read vgpr after write vgpr: 2 wait states
v_accvgpr_write_b32 acc8, v5                       // 
v_accvgpr_write_b32 acc40, v6                      // 
v_accvgpr_write_b32 acc9, v7                       // 
v_accvgpr_write_b32 acc41, v8                      // 
v_accvgpr_write_b32 acc10, v9                      // 
v_accvgpr_write_b32 acc42, v10                     // 
v_accvgpr_read_b32 v5, acc73                       // glvw 6 mb 2 tt1 1 r 0
v_accvgpr_read_b32 v6, acc105                      // glvw 6 mb 2 tt1 1 r 0
v_accvgpr_read_b32 v7, acc74                       // glvw 6 mb 2 tt1 1 r 0
v_accvgpr_read_b32 v8, acc106                      // glvw 6 mb 2 tt1 1 r 0
v_accvgpr_read_b32 v9, acc75                       // glvw 6 mb 2 tt1 1 r 0
v_accvgpr_read_b32 v10, acc107                     // glvw 6 mb 2 tt1 1 r 0
s_nop 1                                            // v_accvgpr read vgpr after write vgpr: 2 wait states
v_accvgpr_write_b32 acc72, v5                      // 
v_accvgpr_write_b32 acc104, v6                     // 
v_accvgpr_write_b32 acc73, v7                      // 
v_accvgpr_write_b32 acc105, v8                     // 
v_accvgpr_write_b32 acc74, v9                      // 
v_accvgpr_write_b32 acc106, v10                    // 
s_mov_b64 s[32:33], 0xFFFFFFFFFFFFFFFF             // to restore all threads active
s_or_saveexec_b64 vcc, s[32:33]                    // all threads active
s_branch label_0148                                // done shifting


/******************************************/
/* shift d0 r=6 mb=3 vw0                  */
/******************************************/
label_0122: // r6 mb3 vw0 
s_mov_b32 s32, 6                                   // 
_v_cmpx_eq_u32 s[32:33], v4, s32                   // is thread in edge glvw region
v_and_b32 v0, 63, v[vgprSerial]                    // permute register between threads
v_lshlrev_b32 v0, 2, v0                            // permute register between threads
v_accvgpr_read_b32 v5, acc13                       // glvw 6 mb 3 tt1 0 r 0
v_accvgpr_read_b32 v6, acc45                       // glvw 6 mb 3 tt1 0 r 0
v_accvgpr_read_b32 v7, acc14                       // glvw 6 mb 3 tt1 0 r 0
v_accvgpr_read_b32 v8, acc46                       // glvw 6 mb 3 tt1 0 r 0
v_accvgpr_read_b32 v9, acc15                       // glvw 6 mb 3 tt1 0 r 0
v_accvgpr_read_b32 v10, acc47                      // glvw 6 mb 3 tt1 0 r 0
s_nop 1                                            // v_accvgpr read vgpr after write vgpr: 2 wait states
v_accvgpr_write_b32 acc12, v5                      // 
v_accvgpr_write_b32 acc44, v6                      // 
v_accvgpr_write_b32 acc13, v7                      // 
v_accvgpr_write_b32 acc45, v8                      // 
v_accvgpr_write_b32 acc14, v9                      // 
v_accvgpr_write_b32 acc46, v10                     // 
v_accvgpr_read_b32 v5, acc77                       // glvw 6 mb 3 tt1 1 r 0
v_accvgpr_read_b32 v6, acc109                      // glvw 6 mb 3 tt1 1 r 0
v_accvgpr_read_b32 v7, acc78                       // glvw 6 mb 3 tt1 1 r 0
v_accvgpr_read_b32 v8, acc110                      // glvw 6 mb 3 tt1 1 r 0
v_accvgpr_read_b32 v9, acc79                       // glvw 6 mb 3 tt1 1 r 0
v_accvgpr_read_b32 v10, acc111                     // glvw 6 mb 3 tt1 1 r 0
s_nop 1                                            // v_accvgpr read vgpr after write vgpr: 2 wait states
v_accvgpr_write_b32 acc76, v5                      // 
v_accvgpr_write_b32 acc108, v6                     // 
v_accvgpr_write_b32 acc77, v7                      // 
v_accvgpr_write_b32 acc109, v8                     // 
v_accvgpr_write_b32 acc78, v9                      // 
v_accvgpr_write_b32 acc110, v10                    // 
s_mov_b64 s[32:33], 0xFFFFFFFFFFFFFFFF             // to restore all threads active
s_or_saveexec_b64 vcc, s[32:33]                    // all threads active
s_branch label_0148                                // done shifting


/******************************************/
/* shift d0 r=6 mb=4 vw0                  */
/******************************************/
label_0124: // r6 mb4 vw0 
s_mov_b32 s32, 8                                   // 
_v_cmpx_eq_u32 s[32:33], v4, s32                   // is thread in edge glvw region
v_and_b32 v0, 63, v[vgprSerial]                    // permute register between threads
v_lshlrev_b32 v0, 2, v0                            // permute register between threads
v_accvgpr_read_b32 v5, acc17                       // glvw 6 mb 4 tt1 0 r 0
v_accvgpr_read_b32 v6, acc49                       // glvw 6 mb 4 tt1 0 r 0
v_accvgpr_read_b32 v7, acc18                       // glvw 6 mb 4 tt1 0 r 0
v_accvgpr_read_b32 v8, acc50                       // glvw 6 mb 4 tt1 0 r 0
v_accvgpr_read_b32 v9, acc19                       // glvw 6 mb 4 tt1 0 r 0
v_accvgpr_read_b32 v10, acc51                      // glvw 6 mb 4 tt1 0 r 0
s_nop 1                                            // v_accvgpr read vgpr after write vgpr: 2 wait states
v_accvgpr_write_b32 acc16, v5                      // 
v_accvgpr_write_b32 acc48, v6                      // 
v_accvgpr_write_b32 acc17, v7                      // 
v_accvgpr_write_b32 acc49, v8                      // 
v_accvgpr_write_b32 acc18, v9                      // 
v_accvgpr_write_b32 acc50, v10                     // 
v_accvgpr_read_b32 v5, acc81                       // glvw 6 mb 4 tt1 1 r 0
v_accvgpr_read_b32 v6, acc113                      // glvw 6 mb 4 tt1 1 r 0
v_accvgpr_read_b32 v7, acc82                       // glvw 6 mb 4 tt1 1 r 0
v_accvgpr_read_b32 v8, acc114                      // glvw 6 mb 4 tt1 1 r 0
v_accvgpr_read_b32 v9, acc83                       // glvw 6 mb 4 tt1 1 r 0
v_accvgpr_read_b32 v10, acc115                     // glvw 6 mb 4 tt1 1 r 0
s_nop 1                                            // v_accvgpr read vgpr after write vgpr: 2 wait states
v_accvgpr_write_b32 acc80, v5                      // 
v_accvgpr_write_b32 acc112, v6                     // 
v_accvgpr_write_b32 acc81, v7                      // 
v_accvgpr_write_b32 acc113, v8                     // 
v_accvgpr_write_b32 acc82, v9                      // 
v_accvgpr_write_b32 acc114, v10                    // 
s_mov_b64 s[32:33], 0xFFFFFFFFFFFFFFFF             // to restore all threads active
s_or_saveexec_b64 vcc, s[32:33]                    // all threads active
s_branch label_0148                                // done shifting


/******************************************/
/* shift d0 r=6 mb=5 vw0                  */
/******************************************/
label_0126: // r6 mb5 vw0 
s_mov_b32 s32, 10                                  // 
_v_cmpx_eq_u32 s[32:33], v4, s32                   // is thread in edge glvw region
v_and_b32 v0, 63, v[vgprSerial]                    // permute register between threads
v_lshlrev_b32 v0, 2, v0                            // permute register between threads
v_accvgpr_read_b32 v5, acc21                       // glvw 6 mb 5 tt1 0 r 0
v_accvgpr_read_b32 v6, acc53                       // glvw 6 mb 5 tt1 0 r 0
v_accvgpr_read_b32 v7, acc22                       // glvw 6 mb 5 tt1 0 r 0
v_accvgpr_read_b32 v8, acc54                       // glvw 6 mb 5 tt1 0 r 0
v_accvgpr_read_b32 v9, acc23                       // glvw 6 mb 5 tt1 0 r 0
v_accvgpr_read_b32 v10, acc55                      // glvw 6 mb 5 tt1 0 r 0
s_nop 1                                            // v_accvgpr read vgpr after write vgpr: 2 wait states
v_accvgpr_write_b32 acc20, v5                      // 
v_accvgpr_write_b32 acc52, v6                      // 
v_accvgpr_write_b32 acc21, v7                      // 
v_accvgpr_write_b32 acc53, v8                      // 
v_accvgpr_write_b32 acc22, v9                      // 
v_accvgpr_write_b32 acc54, v10                     // 
v_accvgpr_read_b32 v5, acc85                       // glvw 6 mb 5 tt1 1 r 0
v_accvgpr_read_b32 v6, acc117                      // glvw 6 mb 5 tt1 1 r 0
v_accvgpr_read_b32 v7, acc86                       // glvw 6 mb 5 tt1 1 r 0
v_accvgpr_read_b32 v8, acc118                      // glvw 6 mb 5 tt1 1 r 0
v_accvgpr_read_b32 v9, acc87                       // glvw 6 mb 5 tt1 1 r 0
v_accvgpr_read_b32 v10, acc119                     // glvw 6 mb 5 tt1 1 r 0
s_nop 1                                            // v_accvgpr read vgpr after write vgpr: 2 wait states
v_accvgpr_write_b32 acc84, v5                      // 
v_accvgpr_write_b32 acc116, v6                     // 
v_accvgpr_write_b32 acc85, v7                      // 
v_accvgpr_write_b32 acc117, v8                     // 
v_accvgpr_write_b32 acc86, v9                      // 
v_accvgpr_write_b32 acc118, v10                    // 
s_mov_b64 s[32:33], 0xFFFFFFFFFFFFFFFF             // to restore all threads active
s_or_saveexec_b64 vcc, s[32:33]                    // all threads active
s_branch label_0148                                // done shifting


/******************************************/
/* shift d0 r=6 mb=6 vw0                  */
/******************************************/
label_0128: // r6 mb6 vw0 
s_mov_b32 s32, 12                                  // 
_v_cmpx_eq_u32 s[32:33], v4, s32                   // is thread in edge glvw region
v_and_b32 v0, 63, v[vgprSerial]                    // permute register between threads
v_lshlrev_b32 v0, 2, v0                            // permute register between threads
v_accvgpr_read_b32 v5, acc25                       // glvw 6 mb 6 tt1 0 r 0
v_accvgpr_read_b32 v6, acc57                       // glvw 6 mb 6 tt1 0 r 0
v_accvgpr_read_b32 v7, acc26                       // glvw 6 mb 6 tt1 0 r 0
v_accvgpr_read_b32 v8, acc58                       // glvw 6 mb 6 tt1 0 r 0
v_accvgpr_read_b32 v9, acc27                       // glvw 6 mb 6 tt1 0 r 0
v_accvgpr_read_b32 v10, acc59                      // glvw 6 mb 6 tt1 0 r 0
s_nop 1                                            // v_accvgpr read vgpr after write vgpr: 2 wait states
v_accvgpr_write_b32 acc24, v5                      // 
v_accvgpr_write_b32 acc56, v6                      // 
v_accvgpr_write_b32 acc25, v7                      // 
v_accvgpr_write_b32 acc57, v8                      // 
v_accvgpr_write_b32 acc26, v9                      // 
v_accvgpr_write_b32 acc58, v10                     // 
v_accvgpr_read_b32 v5, acc89                       // glvw 6 mb 6 tt1 1 r 0
v_accvgpr_read_b32 v6, acc121                      // glvw 6 mb 6 tt1 1 r 0
v_accvgpr_read_b32 v7, acc90                       // glvw 6 mb 6 tt1 1 r 0
v_accvgpr_read_b32 v8, acc122                      // glvw 6 mb 6 tt1 1 r 0
v_accvgpr_read_b32 v9, acc91                       // glvw 6 mb 6 tt1 1 r 0
v_accvgpr_read_b32 v10, acc123                     // glvw 6 mb 6 tt1 1 r 0
s_nop 1                                            // v_accvgpr read vgpr after write vgpr: 2 wait states
v_accvgpr_write_b32 acc88, v5                      // 
v_accvgpr_write_b32 acc120, v6                     // 
v_accvgpr_write_b32 acc89, v7                      // 
v_accvgpr_write_b32 acc121, v8                     // 
v_accvgpr_write_b32 acc90, v9                      // 
v_accvgpr_write_b32 acc122, v10                    // 
s_mov_b64 s[32:33], 0xFFFFFFFFFFFFFFFF             // to restore all threads active
s_or_saveexec_b64 vcc, s[32:33]                    // all threads active
s_branch label_0148                                // done shifting


/******************************************/
/* shift d0 r=6 mb=7 vw0                  */
/******************************************/
label_0130: // r6 mb7 vw0 
s_mov_b32 s32, 14                                  // 
_v_cmpx_eq_u32 s[32:33], v4, s32                   // is thread in edge glvw region
v_and_b32 v0, 63, v[vgprSerial]                    // permute register between threads
v_lshlrev_b32 v0, 2, v0                            // permute register between threads
v_accvgpr_read_b32 v5, acc29                       // glvw 6 mb 7 tt1 0 r 0
v_accvgpr_read_b32 v6, acc61                       // glvw 6 mb 7 tt1 0 r 0
v_accvgpr_read_b32 v7, acc30                       // glvw 6 mb 7 tt1 0 r 0
v_accvgpr_read_b32 v8, acc62                       // glvw 6 mb 7 tt1 0 r 0
v_accvgpr_read_b32 v9, acc31                       // glvw 6 mb 7 tt1 0 r 0
v_accvgpr_read_b32 v10, acc63                      // glvw 6 mb 7 tt1 0 r 0
s_nop 1                                            // v_accvgpr read vgpr after write vgpr: 2 wait states
v_accvgpr_write_b32 acc28, v5                      // 
v_accvgpr_write_b32 acc60, v6                      // 
v_accvgpr_write_b32 acc29, v7                      // 
v_accvgpr_write_b32 acc61, v8                      // 
v_accvgpr_write_b32 acc30, v9                      // 
v_accvgpr_write_b32 acc62, v10                     // 
v_accvgpr_read_b32 v5, acc93                       // glvw 6 mb 7 tt1 1 r 0
v_accvgpr_read_b32 v6, acc125                      // glvw 6 mb 7 tt1 1 r 0
v_accvgpr_read_b32 v7, acc94                       // glvw 6 mb 7 tt1 1 r 0
v_accvgpr_read_b32 v8, acc126                      // glvw 6 mb 7 tt1 1 r 0
v_accvgpr_read_b32 v9, acc95                       // glvw 6 mb 7 tt1 1 r 0
v_accvgpr_read_b32 v10, acc127                     // glvw 6 mb 7 tt1 1 r 0
s_nop 1                                            // v_accvgpr read vgpr after write vgpr: 2 wait states
v_accvgpr_write_b32 acc92, v5                      // 
v_accvgpr_write_b32 acc124, v6                     // 
v_accvgpr_write_b32 acc93, v7                      // 
v_accvgpr_write_b32 acc125, v8                     // 
v_accvgpr_write_b32 acc94, v9                      // 
v_accvgpr_write_b32 acc126, v10                    // 
s_mov_b64 s[32:33], 0xFFFFFFFFFFFFFFFF             // to restore all threads active
s_or_saveexec_b64 vcc, s[32:33]                    // all threads active
s_branch label_0148                                // done shifting


/******************************************/
/* shift d0 r=7 mb=0 vw0                  */
/******************************************/
label_0133: // r7 mb0 vw0 
s_mov_b32 s32, 0                                   // 
_v_cmpx_eq_u32 s[32:33], v4, s32                   // is thread in edge glvw region
v_and_b32 v0, 63, v[vgprSerial]                    // permute register between threads
v_lshlrev_b32 v0, 2, v0                            // permute register between threads
v_accvgpr_read_b32 v5, acc32                       // glvw 7 mb 0 tt1 0 r 0
v_accvgpr_read_b32 v6, acc1                        // glvw 7 mb 0 tt1 0 r 0
v_accvgpr_read_b32 v7, acc33                       // glvw 7 mb 0 tt1 0 r 0
v_accvgpr_read_b32 v8, acc2                        // glvw 7 mb 0 tt1 0 r 0
v_accvgpr_read_b32 v9, acc34                       // glvw 7 mb 0 tt1 0 r 0
v_accvgpr_read_b32 v10, acc3                       // glvw 7 mb 0 tt1 0 r 0
v_accvgpr_read_b32 v11, acc35                      // glvw 7 mb 0 tt1 0 r 0
s_nop 1                                            // v_accvgpr read vgpr after write vgpr: 2 wait states
v_accvgpr_write_b32 acc0, v5                       // 
v_accvgpr_write_b32 acc32, v6                      // 
v_accvgpr_write_b32 acc1, v7                       // 
v_accvgpr_write_b32 acc33, v8                      // 
v_accvgpr_write_b32 acc2, v9                       // 
v_accvgpr_write_b32 acc34, v10                     // 
v_accvgpr_write_b32 acc3, v11                      // 
v_accvgpr_read_b32 v5, acc96                       // glvw 7 mb 0 tt1 1 r 0
v_accvgpr_read_b32 v6, acc65                       // glvw 7 mb 0 tt1 1 r 0
v_accvgpr_read_b32 v7, acc97                       // glvw 7 mb 0 tt1 1 r 0
v_accvgpr_read_b32 v8, acc66                       // glvw 7 mb 0 tt1 1 r 0
v_accvgpr_read_b32 v9, acc98                       // glvw 7 mb 0 tt1 1 r 0
v_accvgpr_read_b32 v10, acc67                      // glvw 7 mb 0 tt1 1 r 0
v_accvgpr_read_b32 v11, acc99                      // glvw 7 mb 0 tt1 1 r 0
s_nop 1                                            // v_accvgpr read vgpr after write vgpr: 2 wait states
v_accvgpr_write_b32 acc64, v5                      // 
v_accvgpr_write_b32 acc96, v6                      // 
v_accvgpr_write_b32 acc65, v7                      // 
v_accvgpr_write_b32 acc97, v8                      // 
v_accvgpr_write_b32 acc66, v9                      // 
v_accvgpr_write_b32 acc98, v10                     // 
v_accvgpr_write_b32 acc67, v11                     // 
s_mov_b64 s[32:33], 0xFFFFFFFFFFFFFFFF             // to restore all threads active
s_or_saveexec_b64 vcc, s[32:33]                    // all threads active
s_branch label_0148                                // done shifting


/******************************************/
/* shift d0 r=7 mb=1 vw0                  */
/******************************************/
label_0135: // r7 mb1 vw0 
s_mov_b32 s32, 2                                   // 
_v_cmpx_eq_u32 s[32:33], v4, s32                   // is thread in edge glvw region
v_and_b32 v0, 63, v[vgprSerial]                    // permute register between threads
v_lshlrev_b32 v0, 2, v0                            // permute register between threads
v_accvgpr_read_b32 v5, acc36                       // glvw 7 mb 1 tt1 0 r 0
v_accvgpr_read_b32 v6, acc5                        // glvw 7 mb 1 tt1 0 r 0
v_accvgpr_read_b32 v7, acc37                       // glvw 7 mb 1 tt1 0 r 0
v_accvgpr_read_b32 v8, acc6                        // glvw 7 mb 1 tt1 0 r 0
v_accvgpr_read_b32 v9, acc38                       // glvw 7 mb 1 tt1 0 r 0
v_accvgpr_read_b32 v10, acc7                       // glvw 7 mb 1 tt1 0 r 0
v_accvgpr_read_b32 v11, acc39                      // glvw 7 mb 1 tt1 0 r 0
s_nop 1                                            // v_accvgpr read vgpr after write vgpr: 2 wait states
v_accvgpr_write_b32 acc4, v5                       // 
v_accvgpr_write_b32 acc36, v6                      // 
v_accvgpr_write_b32 acc5, v7                       // 
v_accvgpr_write_b32 acc37, v8                      // 
v_accvgpr_write_b32 acc6, v9                       // 
v_accvgpr_write_b32 acc38, v10                     // 
v_accvgpr_write_b32 acc7, v11                      // 
v_accvgpr_read_b32 v5, acc100                      // glvw 7 mb 1 tt1 1 r 0
v_accvgpr_read_b32 v6, acc69                       // glvw 7 mb 1 tt1 1 r 0
v_accvgpr_read_b32 v7, acc101                      // glvw 7 mb 1 tt1 1 r 0
v_accvgpr_read_b32 v8, acc70                       // glvw 7 mb 1 tt1 1 r 0
v_accvgpr_read_b32 v9, acc102                      // glvw 7 mb 1 tt1 1 r 0
v_accvgpr_read_b32 v10, acc71                      // glvw 7 mb 1 tt1 1 r 0
v_accvgpr_read_b32 v11, acc103                     // glvw 7 mb 1 tt1 1 r 0
s_nop 1                                            // v_accvgpr read vgpr after write vgpr: 2 wait states
v_accvgpr_write_b32 acc68, v5                      // 
v_accvgpr_write_b32 acc100, v6                     // 
v_accvgpr_write_b32 acc69, v7                      // 
v_accvgpr_write_b32 acc101, v8                     // 
v_accvgpr_write_b32 acc70, v9                      // 
v_accvgpr_write_b32 acc102, v10                    // 
v_accvgpr_write_b32 acc71, v11                     // 
s_mov_b64 s[32:33], 0xFFFFFFFFFFFFFFFF             // to restore all threads active
s_or_saveexec_b64 vcc, s[32:33]                    // all threads active
s_branch label_0148                                // done shifting


/******************************************/
/* shift d0 r=7 mb=2 vw0                  */
/******************************************/
label_0137: // r7 mb2 vw0 
s_mov_b32 s32, 4                                   // 
_v_cmpx_eq_u32 s[32:33], v4, s32                   // is thread in edge glvw region
v_and_b32 v0, 63, v[vgprSerial]                    // permute register between threads
v_lshlrev_b32 v0, 2, v0                            // permute register between threads
v_accvgpr_read_b32 v5, acc40                       // glvw 7 mb 2 tt1 0 r 0
v_accvgpr_read_b32 v6, acc9                        // glvw 7 mb 2 tt1 0 r 0
v_accvgpr_read_b32 v7, acc41                       // glvw 7 mb 2 tt1 0 r 0
v_accvgpr_read_b32 v8, acc10                       // glvw 7 mb 2 tt1 0 r 0
v_accvgpr_read_b32 v9, acc42                       // glvw 7 mb 2 tt1 0 r 0
v_accvgpr_read_b32 v10, acc11                      // glvw 7 mb 2 tt1 0 r 0
v_accvgpr_read_b32 v11, acc43                      // glvw 7 mb 2 tt1 0 r 0
s_nop 1                                            // v_accvgpr read vgpr after write vgpr: 2 wait states
v_accvgpr_write_b32 acc8, v5                       // 
v_accvgpr_write_b32 acc40, v6                      // 
v_accvgpr_write_b32 acc9, v7                       // 
v_accvgpr_write_b32 acc41, v8                      // 
v_accvgpr_write_b32 acc10, v9                      // 
v_accvgpr_write_b32 acc42, v10                     // 
v_accvgpr_write_b32 acc11, v11                     // 
v_accvgpr_read_b32 v5, acc104                      // glvw 7 mb 2 tt1 1 r 0
v_accvgpr_read_b32 v6, acc73                       // glvw 7 mb 2 tt1 1 r 0
v_accvgpr_read_b32 v7, acc105                      // glvw 7 mb 2 tt1 1 r 0
v_accvgpr_read_b32 v8, acc74                       // glvw 7 mb 2 tt1 1 r 0
v_accvgpr_read_b32 v9, acc106                      // glvw 7 mb 2 tt1 1 r 0
v_accvgpr_read_b32 v10, acc75                      // glvw 7 mb 2 tt1 1 r 0
v_accvgpr_read_b32 v11, acc107                     // glvw 7 mb 2 tt1 1 r 0
s_nop 1                                            // v_accvgpr read vgpr after write vgpr: 2 wait states
v_accvgpr_write_b32 acc72, v5                      // 
v_accvgpr_write_b32 acc104, v6                     // 
v_accvgpr_write_b32 acc73, v7                      // 
v_accvgpr_write_b32 acc105, v8                     // 
v_accvgpr_write_b32 acc74, v9                      // 
v_accvgpr_write_b32 acc106, v10                    // 
v_accvgpr_write_b32 acc75, v11                     // 
s_mov_b64 s[32:33], 0xFFFFFFFFFFFFFFFF             // to restore all threads active
s_or_saveexec_b64 vcc, s[32:33]                    // all threads active
s_branch label_0148                                // done shifting


/******************************************/
/* shift d0 r=7 mb=3 vw0                  */
/******************************************/
label_0139: // r7 mb3 vw0 
s_mov_b32 s32, 6                                   // 
_v_cmpx_eq_u32 s[32:33], v4, s32                   // is thread in edge glvw region
v_and_b32 v0, 63, v[vgprSerial]                    // permute register between threads
v_lshlrev_b32 v0, 2, v0                            // permute register between threads
v_accvgpr_read_b32 v5, acc44                       // glvw 7 mb 3 tt1 0 r 0
v_accvgpr_read_b32 v6, acc13                       // glvw 7 mb 3 tt1 0 r 0
v_accvgpr_read_b32 v7, acc45                       // glvw 7 mb 3 tt1 0 r 0
v_accvgpr_read_b32 v8, acc14                       // glvw 7 mb 3 tt1 0 r 0
v_accvgpr_read_b32 v9, acc46                       // glvw 7 mb 3 tt1 0 r 0
v_accvgpr_read_b32 v10, acc15                      // glvw 7 mb 3 tt1 0 r 0
v_accvgpr_read_b32 v11, acc47                      // glvw 7 mb 3 tt1 0 r 0
s_nop 1                                            // v_accvgpr read vgpr after write vgpr: 2 wait states
v_accvgpr_write_b32 acc12, v5                      // 
v_accvgpr_write_b32 acc44, v6                      // 
v_accvgpr_write_b32 acc13, v7                      // 
v_accvgpr_write_b32 acc45, v8                      // 
v_accvgpr_write_b32 acc14, v9                      // 
v_accvgpr_write_b32 acc46, v10                     // 
v_accvgpr_write_b32 acc15, v11                     // 
v_accvgpr_read_b32 v5, acc108                      // glvw 7 mb 3 tt1 1 r 0
v_accvgpr_read_b32 v6, acc77                       // glvw 7 mb 3 tt1 1 r 0
v_accvgpr_read_b32 v7, acc109                      // glvw 7 mb 3 tt1 1 r 0
v_accvgpr_read_b32 v8, acc78                       // glvw 7 mb 3 tt1 1 r 0
v_accvgpr_read_b32 v9, acc110                      // glvw 7 mb 3 tt1 1 r 0
v_accvgpr_read_b32 v10, acc79                      // glvw 7 mb 3 tt1 1 r 0
v_accvgpr_read_b32 v11, acc111                     // glvw 7 mb 3 tt1 1 r 0
s_nop 1                                            // v_accvgpr read vgpr after write vgpr: 2 wait states
v_accvgpr_write_b32 acc76, v5                      // 
v_accvgpr_write_b32 acc108, v6                     // 
v_accvgpr_write_b32 acc77, v7                      // 
v_accvgpr_write_b32 acc109, v8                     // 
v_accvgpr_write_b32 acc78, v9                      // 
v_accvgpr_write_b32 acc110, v10                    // 
v_accvgpr_write_b32 acc79, v11                     // 
s_mov_b64 s[32:33], 0xFFFFFFFFFFFFFFFF             // to restore all threads active
s_or_saveexec_b64 vcc, s[32:33]                    // all threads active
s_branch label_0148                                // done shifting


/******************************************/
/* shift d0 r=7 mb=4 vw0                  */
/******************************************/
label_0141: // r7 mb4 vw0 
s_mov_b32 s32, 8                                   // 
_v_cmpx_eq_u32 s[32:33], v4, s32                   // is thread in edge glvw region
v_and_b32 v0, 63, v[vgprSerial]                    // permute register between threads
v_lshlrev_b32 v0, 2, v0                            // permute register between threads
v_accvgpr_read_b32 v5, acc48                       // glvw 7 mb 4 tt1 0 r 0
v_accvgpr_read_b32 v6, acc17                       // glvw 7 mb 4 tt1 0 r 0
v_accvgpr_read_b32 v7, acc49                       // glvw 7 mb 4 tt1 0 r 0
v_accvgpr_read_b32 v8, acc18                       // glvw 7 mb 4 tt1 0 r 0
v_accvgpr_read_b32 v9, acc50                       // glvw 7 mb 4 tt1 0 r 0
v_accvgpr_read_b32 v10, acc19                      // glvw 7 mb 4 tt1 0 r 0
v_accvgpr_read_b32 v11, acc51                      // glvw 7 mb 4 tt1 0 r 0
s_nop 1                                            // v_accvgpr read vgpr after write vgpr: 2 wait states
v_accvgpr_write_b32 acc16, v5                      // 
v_accvgpr_write_b32 acc48, v6                      // 
v_accvgpr_write_b32 acc17, v7                      // 
v_accvgpr_write_b32 acc49, v8                      // 
v_accvgpr_write_b32 acc18, v9                      // 
v_accvgpr_write_b32 acc50, v10                     // 
v_accvgpr_write_b32 acc19, v11                     // 
v_accvgpr_read_b32 v5, acc112                      // glvw 7 mb 4 tt1 1 r 0
v_accvgpr_read_b32 v6, acc81                       // glvw 7 mb 4 tt1 1 r 0
v_accvgpr_read_b32 v7, acc113                      // glvw 7 mb 4 tt1 1 r 0
v_accvgpr_read_b32 v8, acc82                       // glvw 7 mb 4 tt1 1 r 0
v_accvgpr_read_b32 v9, acc114                      // glvw 7 mb 4 tt1 1 r 0
v_accvgpr_read_b32 v10, acc83                      // glvw 7 mb 4 tt1 1 r 0
v_accvgpr_read_b32 v11, acc115                     // glvw 7 mb 4 tt1 1 r 0
s_nop 1                                            // v_accvgpr read vgpr after write vgpr: 2 wait states
v_accvgpr_write_b32 acc80, v5                      // 
v_accvgpr_write_b32 acc112, v6                     // 
v_accvgpr_write_b32 acc81, v7                      // 
v_accvgpr_write_b32 acc113, v8                     // 
v_accvgpr_write_b32 acc82, v9                      // 
v_accvgpr_write_b32 acc114, v10                    // 
v_accvgpr_write_b32 acc83, v11                     // 
s_mov_b64 s[32:33], 0xFFFFFFFFFFFFFFFF             // to restore all threads active
s_or_saveexec_b64 vcc, s[32:33]                    // all threads active
s_branch label_0148                                // done shifting


/******************************************/
/* shift d0 r=7 mb=5 vw0                  */
/******************************************/
label_0143: // r7 mb5 vw0 
s_mov_b32 s32, 10                                  // 
_v_cmpx_eq_u32 s[32:33], v4, s32                   // is thread in edge glvw region
v_and_b32 v0, 63, v[vgprSerial]                    // permute register between threads
v_lshlrev_b32 v0, 2, v0                            // permute register between threads
v_accvgpr_read_b32 v5, acc52                       // glvw 7 mb 5 tt1 0 r 0
v_accvgpr_read_b32 v6, acc21                       // glvw 7 mb 5 tt1 0 r 0
v_accvgpr_read_b32 v7, acc53                       // glvw 7 mb 5 tt1 0 r 0
v_accvgpr_read_b32 v8, acc22                       // glvw 7 mb 5 tt1 0 r 0
v_accvgpr_read_b32 v9, acc54                       // glvw 7 mb 5 tt1 0 r 0
v_accvgpr_read_b32 v10, acc23                      // glvw 7 mb 5 tt1 0 r 0
v_accvgpr_read_b32 v11, acc55                      // glvw 7 mb 5 tt1 0 r 0
s_nop 1                                            // v_accvgpr read vgpr after write vgpr: 2 wait states
v_accvgpr_write_b32 acc20, v5                      // 
v_accvgpr_write_b32 acc52, v6                      // 
v_accvgpr_write_b32 acc21, v7                      // 
v_accvgpr_write_b32 acc53, v8                      // 
v_accvgpr_write_b32 acc22, v9                      // 
v_accvgpr_write_b32 acc54, v10                     // 
v_accvgpr_write_b32 acc23, v11                     // 
v_accvgpr_read_b32 v5, acc116                      // glvw 7 mb 5 tt1 1 r 0
v_accvgpr_read_b32 v6, acc85                       // glvw 7 mb 5 tt1 1 r 0
v_accvgpr_read_b32 v7, acc117                      // glvw 7 mb 5 tt1 1 r 0
v_accvgpr_read_b32 v8, acc86                       // glvw 7 mb 5 tt1 1 r 0
v_accvgpr_read_b32 v9, acc118                      // glvw 7 mb 5 tt1 1 r 0
v_accvgpr_read_b32 v10, acc87                      // glvw 7 mb 5 tt1 1 r 0
v_accvgpr_read_b32 v11, acc119                     // glvw 7 mb 5 tt1 1 r 0
s_nop 1                                            // v_accvgpr read vgpr after write vgpr: 2 wait states
v_accvgpr_write_b32 acc84, v5                      // 
v_accvgpr_write_b32 acc116, v6                     // 
v_accvgpr_write_b32 acc85, v7                      // 
v_accvgpr_write_b32 acc117, v8                     // 
v_accvgpr_write_b32 acc86, v9                      // 
v_accvgpr_write_b32 acc118, v10                    // 
v_accvgpr_write_b32 acc87, v11                     // 
s_mov_b64 s[32:33], 0xFFFFFFFFFFFFFFFF             // to restore all threads active
s_or_saveexec_b64 vcc, s[32:33]                    // all threads active
s_branch label_0148                                // done shifting


/******************************************/
/* shift d0 r=7 mb=6 vw0                  */
/******************************************/
label_0145: // r7 mb6 vw0 
s_mov_b32 s32, 12                                  // 
_v_cmpx_eq_u32 s[32:33], v4, s32                   // is thread in edge glvw region
v_and_b32 v0, 63, v[vgprSerial]                    // permute register between threads
v_lshlrev_b32 v0, 2, v0                            // permute register between threads
v_accvgpr_read_b32 v5, acc56                       // glvw 7 mb 6 tt1 0 r 0
v_accvgpr_read_b32 v6, acc25                       // glvw 7 mb 6 tt1 0 r 0
v_accvgpr_read_b32 v7, acc57                       // glvw 7 mb 6 tt1 0 r 0
v_accvgpr_read_b32 v8, acc26                       // glvw 7 mb 6 tt1 0 r 0
v_accvgpr_read_b32 v9, acc58                       // glvw 7 mb 6 tt1 0 r 0
v_accvgpr_read_b32 v10, acc27                      // glvw 7 mb 6 tt1 0 r 0
v_accvgpr_read_b32 v11, acc59                      // glvw 7 mb 6 tt1 0 r 0
s_nop 1                                            // v_accvgpr read vgpr after write vgpr: 2 wait states
v_accvgpr_write_b32 acc24, v5                      // 
v_accvgpr_write_b32 acc56, v6                      // 
v_accvgpr_write_b32 acc25, v7                      // 
v_accvgpr_write_b32 acc57, v8                      // 
v_accvgpr_write_b32 acc26, v9                      // 
v_accvgpr_write_b32 acc58, v10                     // 
v_accvgpr_write_b32 acc27, v11                     // 
v_accvgpr_read_b32 v5, acc120                      // glvw 7 mb 6 tt1 1 r 0
v_accvgpr_read_b32 v6, acc89                       // glvw 7 mb 6 tt1 1 r 0
v_accvgpr_read_b32 v7, acc121                      // glvw 7 mb 6 tt1 1 r 0
v_accvgpr_read_b32 v8, acc90                       // glvw 7 mb 6 tt1 1 r 0
v_accvgpr_read_b32 v9, acc122                      // glvw 7 mb 6 tt1 1 r 0
v_accvgpr_read_b32 v10, acc91                      // glvw 7 mb 6 tt1 1 r 0
v_accvgpr_read_b32 v11, acc123                     // glvw 7 mb 6 tt1 1 r 0
s_nop 1                                            // v_accvgpr read vgpr after write vgpr: 2 wait states
v_accvgpr_write_b32 acc88, v5                      // 
v_accvgpr_write_b32 acc120, v6                     // 
v_accvgpr_write_b32 acc89, v7                      // 
v_accvgpr_write_b32 acc121, v8                     // 
v_accvgpr_write_b32 acc90, v9                      // 
v_accvgpr_write_b32 acc122, v10                    // 
v_accvgpr_write_b32 acc91, v11                     // 
s_mov_b64 s[32:33], 0xFFFFFFFFFFFFFFFF             // to restore all threads active
s_or_saveexec_b64 vcc, s[32:33]                    // all threads active
s_branch label_0148                                // done shifting


/******************************************/
/* shift d0 r=7 mb=7 vw0                  */
/******************************************/
label_0147: // r7 mb7 vw0 
s_mov_b32 s32, 14                                  // 
_v_cmpx_eq_u32 s[32:33], v4, s32                   // is thread in edge glvw region
v_and_b32 v0, 63, v[vgprSerial]                    // permute register between threads
v_lshlrev_b32 v0, 2, v0                            // permute register between threads
v_accvgpr_read_b32 v5, acc60                       // glvw 7 mb 7 tt1 0 r 0
v_accvgpr_read_b32 v6, acc29                       // glvw 7 mb 7 tt1 0 r 0
v_accvgpr_read_b32 v7, acc61                       // glvw 7 mb 7 tt1 0 r 0
v_accvgpr_read_b32 v8, acc30                       // glvw 7 mb 7 tt1 0 r 0
v_accvgpr_read_b32 v9, acc62                       // glvw 7 mb 7 tt1 0 r 0
v_accvgpr_read_b32 v10, acc31                      // glvw 7 mb 7 tt1 0 r 0
v_accvgpr_read_b32 v11, acc63                      // glvw 7 mb 7 tt1 0 r 0
s_nop 1                                            // v_accvgpr read vgpr after write vgpr: 2 wait states
v_accvgpr_write_b32 acc28, v5                      // 
v_accvgpr_write_b32 acc60, v6                      // 
v_accvgpr_write_b32 acc29, v7                      // 
v_accvgpr_write_b32 acc61, v8                      // 
v_accvgpr_write_b32 acc30, v9                      // 
v_accvgpr_write_b32 acc62, v10                     // 
v_accvgpr_write_b32 acc31, v11                     // 
v_accvgpr_read_b32 v5, acc124                      // glvw 7 mb 7 tt1 1 r 0
v_accvgpr_read_b32 v6, acc93                       // glvw 7 mb 7 tt1 1 r 0
v_accvgpr_read_b32 v7, acc125                      // glvw 7 mb 7 tt1 1 r 0
v_accvgpr_read_b32 v8, acc94                       // glvw 7 mb 7 tt1 1 r 0
v_accvgpr_read_b32 v9, acc126                      // glvw 7 mb 7 tt1 1 r 0
v_accvgpr_read_b32 v10, acc95                      // glvw 7 mb 7 tt1 1 r 0
v_accvgpr_read_b32 v11, acc127                     // glvw 7 mb 7 tt1 1 r 0
s_nop 1                                            // v_accvgpr read vgpr after write vgpr: 2 wait states
v_accvgpr_write_b32 acc92, v5                      // 
v_accvgpr_write_b32 acc124, v6                     // 
v_accvgpr_write_b32 acc93, v7                      // 
v_accvgpr_write_b32 acc125, v8                     // 
v_accvgpr_write_b32 acc94, v9                      // 
v_accvgpr_write_b32 acc126, v10                    // 
v_accvgpr_write_b32 acc95, v11                     // 
s_mov_b64 s[32:33], 0xFFFFFFFFFFFFFFFF             // to restore all threads active
s_or_saveexec_b64 vcc, s[32:33]                    // all threads active
s_branch label_0148                                // done shifting

label_0148: // end shift0


	;; [unrolled: 1-line block ×3, first 2 shown]
/* not-LocalSplitU: global write indices */

/* computeStoreVgprs */
v_lshrrev_b32 v4, 6, v[vgprSerial]                 // v4 = v[vgprSerial] / 64
v_lshrrev_b32 v1, 1, v4                            // v1 = v4 / 2
v_mul_lo_u32 v1, 0x20, v1                          // wave coordination offset 1
v_and_b32 v5, 31, v[vgprSerial]                    // v5 = v[vgprSerial] % 32
_v_add_lshl_u32 v1, v5, v1, 1                      // coordination 1 = vwb *(wave_id1 + tid1)
v_mul_lo_u32 v2, v1, s[sgprStrideC1J]              //  offset 1
v_mul_lo_u32 v3, v1, s[sgprStrideD1J]              //  offset 1
v_and_b32 v0, 63, v[vgprSerial]                    // v0 = v[vgprSerial] % 64
v_lshrrev_b32 v0, 5, v0                            // v0 = v0 / 32
v_lshlrev_b32 v0, 0x2, v0                          // thread0 * continuous_output
v_and_b32 v5, 1, v4                                // v5 = v4 % 2
v_mul_lo_u32 v5, 0x40, v5                          // wave coordination offset 0
_v_add_lshl_u32 v0, v5, v0, 1                      // coordination 0 = vwa *(wave_id0 + tid0)
s_mul_i32 s31, 256, s[sgprWorkGroup0]              // wgp0 * MT0
_v_add_u32 v0, s31, v0                             // coord 0 = (tid0/MI_m)*4 + waveG0*MIB_m + MT0*SG0
s_mul_i32 s31, 128, s[sgprWorkGroup1]              // wgp1 * MT1
_v_add_u32 v1, s31, v1                             // coord 1 = (tid0%MI_m) + waveG1*MIB_n + MT1*SG1


/* not-LocalSplitU: global write */

s_cmpk_eq_u32 s[sgprBeta], 0x0                     // Beta == 0
s_cbranch_scc0 GW_Beta_179                         // Branch if Beta is not zero

s_and_b32 s32, 255, s[sgprSizeI]                   // s32 = s[sgprSizeI] % 256
s_add_u32 s33, -0x1, s[sgprNumWorkGroups0]         // 
s_cmp_ge_u32 s[sgprWorkGroup0], s33                // wg0 >= nwg0-1 ?
s_cselect_b32 s32, s32, 0                          // set rMT0
s_cmpk_gt_u32 s32, 0x0                             // rMT0 > 0
s_cbranch_scc1 GW_B0_E1_170                        // jump if edges required
s_and_b32 s32, 127, s[sgprSizeJ]                   // s32 = s[sgprSizeJ] % 128
s_add_u32 s33, -0x1, s[sgprNumWorkGroups1]         // 
s_cmp_ge_u32 s[sgprWorkGroup1], s33                // wg1 >= nwg1-1
s_cselect_b32 s32, s32, 0                          // set rMT1
s_cmpk_gt_u32 s32, 0x0                             // rMT1 > 0
s_cbranch_scc1 GW_B0_E1_170                        // jump if edges required
GW_B0_E0_167:

/* edge=0, allocate 2 sgpr. perBatchTmpS=2 perBatchMaskS=0 perElementMaskS=0 elementsPerBatch=60 */
/* optSingleColVgpr=1 optSharedColVgpr=0 optSGPRUsage=BufferLoad_Mask optSrdIncForRow=1 */

/******************************************/
/* Global Write Alpha Batch #0 (d1,d0,vc1,vc0) = */
/*    (0,0,0,0:vw4); (0,0,0,4:vw4); (0,1,0,0:vw4); (0,1,0,4:vw4); (0,2,0,0:vw4); (0,2,0,4:vw4); (0,3,0,0:vw4); (0,3,0,4:vw4); (0,4,0,0:vw4); (0,4,0,4:vw4); (0,5,0,0:vw4); (0,5,0,4:vw4); (0,6,0,0:vw4); (0,6,0,4:vw4); (0,7,0,0:vw4); (0,7,0,4:vw4); (0,0,1,0:vw4); (0,0,1,4:vw4); (0,1,1,0:vw4); (0,1,1,4:vw4); (0,2,1,0:vw4); (0,2,1,4:vw4); (0,3,1,0:vw4); (0,3,1,4:vw4); (0,4,1,0:vw4); (0,4,1,4:vw4); (0,5,1,0:vw4); (0,5,1,4:vw4); (0,6,1,0:vw4); (0,6,1,4:vw4); (0,7,1,0:vw4); (0,7,1,4:vw4) */
/******************************************/

/* calc coords, apply mask, and issue loads (if necessary) */
/* (d1,vc1,d0,vc0)=(0,0,0,0) */
/* (d1,vc1,d0,vc0)=(0,0,0,4) */
	;; [unrolled: 1-line block ×32, first 2 shown]
_v_add_lshl_u32 v6, v3, v0, 0x2                    // optSingleColVgpr scaleToBpe: sharedAddrVgpr <- cinRowPtr + coord0, scaled by BPE. BSHERE:coord0=0, coord0Vgpr=0
v_accvgpr_read_b32 v[vgprValuC+8], acc0 // copy acc to vreg[0]
v_accvgpr_read_b32 v[vgprValuC+9], acc32 // copy acc to vreg[1]
v_accvgpr_read_b32 v[vgprValuC+10], acc1 // copy acc to vreg[2]
v_accvgpr_read_b32 v[vgprValuC+11], acc33 // copy acc to vreg[3]
v_accvgpr_read_b32 v[vgprValuC+12], acc2 // copy acc to vreg[4]
v_accvgpr_read_b32 v[vgprValuC+13], acc34 // copy acc to vreg[5]
v_accvgpr_read_b32 v[vgprValuC+14], acc3 // copy acc to vreg[6]
v_accvgpr_read_b32 v[vgprValuC+15], acc35 // copy acc to vreg[7]
v_accvgpr_read_b32 v[vgprValuC+16], acc4 // copy acc to vreg[8]
v_accvgpr_read_b32 v[vgprValuC+17], acc36 // copy acc to vreg[9]
v_accvgpr_read_b32 v[vgprValuC+18], acc5 // copy acc to vreg[10]
v_accvgpr_read_b32 v[vgprValuC+19], acc37 // copy acc to vreg[11]
v_accvgpr_read_b32 v[vgprValuC+20], acc6 // copy acc to vreg[12]
v_accvgpr_read_b32 v[vgprValuC+21], acc38 // copy acc to vreg[13]
v_accvgpr_read_b32 v[vgprValuC+22], acc7 // copy acc to vreg[14]
v_accvgpr_read_b32 v[vgprValuC+23], acc39 // copy acc to vreg[15]
v_accvgpr_read_b32 v[vgprValuC+24], acc8 // copy acc to vreg[16]
v_accvgpr_read_b32 v[vgprValuC+25], acc40 // copy acc to vreg[17]
v_accvgpr_read_b32 v[vgprValuC+26], acc9 // copy acc to vreg[18]
v_accvgpr_read_b32 v[vgprValuC+27], acc41 // copy acc to vreg[19]
v_accvgpr_read_b32 v[vgprValuC+28], acc10 // copy acc to vreg[20]
v_accvgpr_read_b32 v[vgprValuC+29], acc42 // copy acc to vreg[21]
v_accvgpr_read_b32 v[vgprValuC+30], acc11 // copy acc to vreg[22]
v_accvgpr_read_b32 v[vgprValuC+31], acc43 // copy acc to vreg[23]
v_accvgpr_read_b32 v[vgprValuC+32], acc12 // copy acc to vreg[24]
v_accvgpr_read_b32 v[vgprValuC+33], acc44 // copy acc to vreg[25]
v_accvgpr_read_b32 v[vgprValuC+34], acc13 // copy acc to vreg[26]
v_accvgpr_read_b32 v[vgprValuC+35], acc45 // copy acc to vreg[27]
v_accvgpr_read_b32 v[vgprValuC+36], acc14 // copy acc to vreg[28]
v_accvgpr_read_b32 v[vgprValuC+37], acc46 // copy acc to vreg[29]
v_accvgpr_read_b32 v[vgprValuC+38], acc15 // copy acc to vreg[30]
v_accvgpr_read_b32 v[vgprValuC+39], acc47 // copy acc to vreg[31]
v_accvgpr_read_b32 v[vgprValuC+40], acc16 // copy acc to vreg[32]
v_accvgpr_read_b32 v[vgprValuC+41], acc48 // copy acc to vreg[33]
v_accvgpr_read_b32 v[vgprValuC+42], acc17 // copy acc to vreg[34]
v_accvgpr_read_b32 v[vgprValuC+43], acc49 // copy acc to vreg[35]
v_accvgpr_read_b32 v[vgprValuC+44], acc18 // copy acc to vreg[36]
v_accvgpr_read_b32 v[vgprValuC+45], acc50 // copy acc to vreg[37]
v_accvgpr_read_b32 v[vgprValuC+46], acc19 // copy acc to vreg[38]
v_accvgpr_read_b32 v[vgprValuC+47], acc51 // copy acc to vreg[39]
v_accvgpr_read_b32 v[vgprValuC+52], acc20 // copy acc to vreg[40]
v_accvgpr_read_b32 v[vgprValuC+53], acc52 // copy acc to vreg[41]
v_accvgpr_read_b32 v[vgprValuC+54], acc21 // copy acc to vreg[42]
v_accvgpr_read_b32 v[vgprValuC+55], acc53 // copy acc to vreg[43]
v_accvgpr_read_b32 v[vgprValuC+56], acc22 // copy acc to vreg[44]
v_accvgpr_read_b32 v[vgprValuC+57], acc54 // copy acc to vreg[45]
v_accvgpr_read_b32 v[vgprValuC+58], acc23 // copy acc to vreg[46]
v_accvgpr_read_b32 v[vgprValuC+59], acc55 // copy acc to vreg[47]
v_accvgpr_read_b32 v[vgprValuC+60], acc24 // copy acc to vreg[48]
v_accvgpr_read_b32 v[vgprValuC+61], acc56 // copy acc to vreg[49]
v_accvgpr_read_b32 v[vgprValuC+62], acc25 // copy acc to vreg[50]
v_accvgpr_read_b32 v[vgprValuC+63], acc57 // copy acc to vreg[51]
v_accvgpr_read_b32 v[vgprValuC+64], acc26 // copy acc to vreg[52]
v_accvgpr_read_b32 v[vgprValuC+65], acc58 // copy acc to vreg[53]
v_accvgpr_read_b32 v[vgprValuC+66], acc27 // copy acc to vreg[54]
v_accvgpr_read_b32 v[vgprValuC+67], acc59 // copy acc to vreg[55]
v_accvgpr_read_b32 v[vgprValuC+68], acc28 // copy acc to vreg[56]
v_accvgpr_read_b32 v[vgprValuC+69], acc60 // copy acc to vreg[57]
v_accvgpr_read_b32 v[vgprValuC+70], acc29 // copy acc to vreg[58]
v_accvgpr_read_b32 v[vgprValuC+71], acc61 // copy acc to vreg[59]
v_accvgpr_read_b32 v[vgprValuC+72], acc30 // copy acc to vreg[60]
v_accvgpr_read_b32 v[vgprValuC+73], acc62 // copy acc to vreg[61]
v_accvgpr_read_b32 v[vgprValuC+74], acc31 // copy acc to vreg[62]
v_accvgpr_read_b32 v[vgprValuC+75], acc63 // copy acc to vreg[63]
v_accvgpr_read_b32 v[vgprValuC+76], acc64 // copy acc to vreg[64]
v_accvgpr_read_b32 v[vgprValuC+77], acc96 // copy acc to vreg[65]
v_accvgpr_read_b32 v[vgprValuC+78], acc65 // copy acc to vreg[66]
v_accvgpr_read_b32 v[vgprValuC+79], acc97 // copy acc to vreg[67]
v_accvgpr_read_b32 v[vgprValuC+80], acc66 // copy acc to vreg[68]
v_accvgpr_read_b32 v[vgprValuC+81], acc98 // copy acc to vreg[69]
v_accvgpr_read_b32 v[vgprValuC+82], acc67 // copy acc to vreg[70]
v_accvgpr_read_b32 v[vgprValuC+83], acc99 // copy acc to vreg[71]
v_accvgpr_read_b32 v[vgprValuC+84], acc68 // copy acc to vreg[72]
v_accvgpr_read_b32 v[vgprValuC+85], acc100 // copy acc to vreg[73]
v_accvgpr_read_b32 v[vgprValuC+86], acc69 // copy acc to vreg[74]
v_accvgpr_read_b32 v[vgprValuC+87], acc101 // copy acc to vreg[75]
v_accvgpr_read_b32 v[vgprValuC+88], acc70 // copy acc to vreg[76]
v_accvgpr_read_b32 v[vgprValuC+89], acc102 // copy acc to vreg[77]
v_accvgpr_read_b32 v[vgprValuC+90], acc71 // copy acc to vreg[78]
v_accvgpr_read_b32 v[vgprValuC+91], acc103 // copy acc to vreg[79]
v_accvgpr_read_b32 v[vgprValuC+92], acc72 // copy acc to vreg[80]
v_accvgpr_read_b32 v[vgprValuC+93], acc104 // copy acc to vreg[81]
v_accvgpr_read_b32 v[vgprValuC+94], acc73 // copy acc to vreg[82]
v_accvgpr_read_b32 v[vgprValuC+95], acc105 // copy acc to vreg[83]
v_accvgpr_read_b32 v[vgprValuC+96], acc74 // copy acc to vreg[84]
v_accvgpr_read_b32 v[vgprValuC+97], acc106 // copy acc to vreg[85]
v_accvgpr_read_b32 v[vgprValuC+98], acc75 // copy acc to vreg[86]
v_accvgpr_read_b32 v[vgprValuC+99], acc107 // copy acc to vreg[87]
v_accvgpr_read_b32 v[vgprValuC+100], acc76 // copy acc to vreg[88]
v_accvgpr_read_b32 v[vgprValuC+101], acc108 // copy acc to vreg[89]
v_accvgpr_read_b32 v[vgprValuC+102], acc77 // copy acc to vreg[90]
v_accvgpr_read_b32 v[vgprValuC+103], acc109 // copy acc to vreg[91]
v_accvgpr_read_b32 v[vgprValuC+104], acc78 // copy acc to vreg[92]
v_accvgpr_read_b32 v[vgprValuC+105], acc110 // copy acc to vreg[93]
v_accvgpr_read_b32 v[vgprValuC+106], acc79 // copy acc to vreg[94]
v_accvgpr_read_b32 v[vgprValuC+107], acc111 // copy acc to vreg[95]
v_accvgpr_read_b32 v[vgprValuC+108], acc80 // copy acc to vreg[96]
v_accvgpr_read_b32 v[vgprValuC+109], acc112 // copy acc to vreg[97]
v_accvgpr_read_b32 v[vgprValuC+110], acc81 // copy acc to vreg[98]
v_accvgpr_read_b32 v[vgprValuC+111], acc113 // copy acc to vreg[99]
v_accvgpr_read_b32 v[vgprValuC+112], acc82 // copy acc to vreg[100]
v_accvgpr_read_b32 v[vgprValuC+113], acc114 // copy acc to vreg[101]
v_accvgpr_read_b32 v[vgprValuC+114], acc83 // copy acc to vreg[102]
v_accvgpr_read_b32 v[vgprValuC+115], acc115 // copy acc to vreg[103]
v_accvgpr_read_b32 v[vgprValuC+116], acc84 // copy acc to vreg[104]
v_accvgpr_read_b32 v[vgprValuC+117], acc116 // copy acc to vreg[105]
v_accvgpr_read_b32 v[vgprValuC+118], acc85 // copy acc to vreg[106]
v_accvgpr_read_b32 v[vgprValuC+119], acc117 // copy acc to vreg[107]
v_accvgpr_read_b32 v[vgprValuC+120], acc86 // copy acc to vreg[108]
v_accvgpr_read_b32 v[vgprValuC+121], acc118 // copy acc to vreg[109]
v_accvgpr_read_b32 v[vgprValuC+122], acc87 // copy acc to vreg[110]
v_accvgpr_read_b32 v[vgprValuC+123], acc119 // copy acc to vreg[111]
v_accvgpr_read_b32 v[vgprValuC+124], acc88 // copy acc to vreg[112]
v_accvgpr_read_b32 v[vgprValuC+125], acc120 // copy acc to vreg[113]
v_accvgpr_read_b32 v[vgprValuC+126], acc89 // copy acc to vreg[114]
v_accvgpr_read_b32 v[vgprValuC+127], acc121 // copy acc to vreg[115]
v_accvgpr_read_b32 v[vgprValuC+128], acc90 // copy acc to vreg[116]
v_accvgpr_read_b32 v[vgprValuC+129], acc122 // copy acc to vreg[117]
v_accvgpr_read_b32 v[vgprValuC+130], acc91 // copy acc to vreg[118]
v_accvgpr_read_b32 v[vgprValuC+131], acc123 // copy acc to vreg[119]
v_accvgpr_read_b32 v[vgprValuC+132], acc92 // copy acc to vreg[120]
v_accvgpr_read_b32 v[vgprValuC+133], acc124 // copy acc to vreg[121]
v_accvgpr_read_b32 v[vgprValuC+134], acc93 // copy acc to vreg[122]
v_accvgpr_read_b32 v[vgprValuC+135], acc125 // copy acc to vreg[123]
v_accvgpr_read_b32 v[vgprValuC+136], acc94 // copy acc to vreg[124]
v_accvgpr_read_b32 v[vgprValuC+137], acc126 // copy acc to vreg[125]
v_accvgpr_read_b32 v[vgprValuC+138], acc95 // copy acc to vreg[126]
v_accvgpr_read_b32 v[vgprValuC+139], acc127 // copy acc to vreg[127]
s_nop 1                                            // 2 wait states required before reading vgpr

/* rC *= alpha batchElements=[(0, 0, 0, 0), (0, 0, 0, 4), (0, 1, 0, 0), (0, 1, 0, 4), (0, 2, 0, 0), (0, 2, 0, 4), (0, 3, 0, 0), (0, 3, 0, 4), (0, 4, 0, 0), (0, 4, 0, 4), (0, 5, 0, 0), (0, 5, 0, 4), (0, 6, 0, 0), (0, 6, 0, 4), (0, 7, 0, 0), (0, 7, 0, 4), (0, 0, 1, 0), (0, 0, 1, 4), (0, 1, 1, 0), (0, 1, 1, 4), (0, 2, 1, 0), (0, 2, 1, 4), (0, 3, 1, 0), (0, 3, 1, 4), (0, 4, 1, 0), (0, 4, 1, 4), (0, 5, 1, 0), (0, 5, 1, 4), (0, 6, 1, 0), (0, 6, 1, 4), (0, 7, 1, 0), (0, 7, 1, 4)] */
v_mul_f32 v[vgprValuC+8], s[sgprAlpha], v[vgprValuC+8] // *= alpha
v_mul_f32 v[vgprValuC+9], s[sgprAlpha], v[vgprValuC+9] // *= alpha
v_mul_f32 v[vgprValuC+10], s[sgprAlpha], v[vgprValuC+10] // *= alpha
v_mul_f32 v[vgprValuC+11], s[sgprAlpha], v[vgprValuC+11] // *= alpha
v_mul_f32 v[vgprValuC+12], s[sgprAlpha], v[vgprValuC+12] // *= alpha
v_mul_f32 v[vgprValuC+13], s[sgprAlpha], v[vgprValuC+13] // *= alpha
v_mul_f32 v[vgprValuC+14], s[sgprAlpha], v[vgprValuC+14] // *= alpha
v_mul_f32 v[vgprValuC+15], s[sgprAlpha], v[vgprValuC+15] // *= alpha
v_mul_f32 v[vgprValuC+16], s[sgprAlpha], v[vgprValuC+16] // *= alpha
v_mul_f32 v[vgprValuC+17], s[sgprAlpha], v[vgprValuC+17] // *= alpha
v_mul_f32 v[vgprValuC+18], s[sgprAlpha], v[vgprValuC+18] // *= alpha
v_mul_f32 v[vgprValuC+19], s[sgprAlpha], v[vgprValuC+19] // *= alpha
v_mul_f32 v[vgprValuC+20], s[sgprAlpha], v[vgprValuC+20] // *= alpha
v_mul_f32 v[vgprValuC+21], s[sgprAlpha], v[vgprValuC+21] // *= alpha
v_mul_f32 v[vgprValuC+22], s[sgprAlpha], v[vgprValuC+22] // *= alpha
v_mul_f32 v[vgprValuC+23], s[sgprAlpha], v[vgprValuC+23] // *= alpha
v_mul_f32 v[vgprValuC+24], s[sgprAlpha], v[vgprValuC+24] // *= alpha
v_mul_f32 v[vgprValuC+25], s[sgprAlpha], v[vgprValuC+25] // *= alpha
v_mul_f32 v[vgprValuC+26], s[sgprAlpha], v[vgprValuC+26] // *= alpha
v_mul_f32 v[vgprValuC+27], s[sgprAlpha], v[vgprValuC+27] // *= alpha
v_mul_f32 v[vgprValuC+28], s[sgprAlpha], v[vgprValuC+28] // *= alpha
v_mul_f32 v[vgprValuC+29], s[sgprAlpha], v[vgprValuC+29] // *= alpha
v_mul_f32 v[vgprValuC+30], s[sgprAlpha], v[vgprValuC+30] // *= alpha
v_mul_f32 v[vgprValuC+31], s[sgprAlpha], v[vgprValuC+31] // *= alpha
v_mul_f32 v[vgprValuC+32], s[sgprAlpha], v[vgprValuC+32] // *= alpha
v_mul_f32 v[vgprValuC+33], s[sgprAlpha], v[vgprValuC+33] // *= alpha
v_mul_f32 v[vgprValuC+34], s[sgprAlpha], v[vgprValuC+34] // *= alpha
v_mul_f32 v[vgprValuC+35], s[sgprAlpha], v[vgprValuC+35] // *= alpha
v_mul_f32 v[vgprValuC+36], s[sgprAlpha], v[vgprValuC+36] // *= alpha
v_mul_f32 v[vgprValuC+37], s[sgprAlpha], v[vgprValuC+37] // *= alpha
v_mul_f32 v[vgprValuC+38], s[sgprAlpha], v[vgprValuC+38] // *= alpha
v_mul_f32 v[vgprValuC+39], s[sgprAlpha], v[vgprValuC+39] // *= alpha
v_mul_f32 v[vgprValuC+40], s[sgprAlpha], v[vgprValuC+40] // *= alpha
v_mul_f32 v[vgprValuC+41], s[sgprAlpha], v[vgprValuC+41] // *= alpha
v_mul_f32 v[vgprValuC+42], s[sgprAlpha], v[vgprValuC+42] // *= alpha
v_mul_f32 v[vgprValuC+43], s[sgprAlpha], v[vgprValuC+43] // *= alpha
v_mul_f32 v[vgprValuC+44], s[sgprAlpha], v[vgprValuC+44] // *= alpha
v_mul_f32 v[vgprValuC+45], s[sgprAlpha], v[vgprValuC+45] // *= alpha
v_mul_f32 v[vgprValuC+46], s[sgprAlpha], v[vgprValuC+46] // *= alpha
v_mul_f32 v[vgprValuC+47], s[sgprAlpha], v[vgprValuC+47] // *= alpha
v_mul_f32 v[vgprValuC+52], s[sgprAlpha], v[vgprValuC+52] // *= alpha
v_mul_f32 v[vgprValuC+53], s[sgprAlpha], v[vgprValuC+53] // *= alpha
v_mul_f32 v[vgprValuC+54], s[sgprAlpha], v[vgprValuC+54] // *= alpha
v_mul_f32 v[vgprValuC+55], s[sgprAlpha], v[vgprValuC+55] // *= alpha
v_mul_f32 v[vgprValuC+56], s[sgprAlpha], v[vgprValuC+56] // *= alpha
v_mul_f32 v[vgprValuC+57], s[sgprAlpha], v[vgprValuC+57] // *= alpha
v_mul_f32 v[vgprValuC+58], s[sgprAlpha], v[vgprValuC+58] // *= alpha
v_mul_f32 v[vgprValuC+59], s[sgprAlpha], v[vgprValuC+59] // *= alpha
v_mul_f32 v[vgprValuC+60], s[sgprAlpha], v[vgprValuC+60] // *= alpha
v_mul_f32 v[vgprValuC+61], s[sgprAlpha], v[vgprValuC+61] // *= alpha
v_mul_f32 v[vgprValuC+62], s[sgprAlpha], v[vgprValuC+62] // *= alpha
v_mul_f32 v[vgprValuC+63], s[sgprAlpha], v[vgprValuC+63] // *= alpha
v_mul_f32 v[vgprValuC+64], s[sgprAlpha], v[vgprValuC+64] // *= alpha
v_mul_f32 v[vgprValuC+65], s[sgprAlpha], v[vgprValuC+65] // *= alpha
v_mul_f32 v[vgprValuC+66], s[sgprAlpha], v[vgprValuC+66] // *= alpha
v_mul_f32 v[vgprValuC+67], s[sgprAlpha], v[vgprValuC+67] // *= alpha
v_mul_f32 v[vgprValuC+68], s[sgprAlpha], v[vgprValuC+68] // *= alpha
v_mul_f32 v[vgprValuC+69], s[sgprAlpha], v[vgprValuC+69] // *= alpha
v_mul_f32 v[vgprValuC+70], s[sgprAlpha], v[vgprValuC+70] // *= alpha
v_mul_f32 v[vgprValuC+71], s[sgprAlpha], v[vgprValuC+71] // *= alpha
v_mul_f32 v[vgprValuC+72], s[sgprAlpha], v[vgprValuC+72] // *= alpha
v_mul_f32 v[vgprValuC+73], s[sgprAlpha], v[vgprValuC+73] // *= alpha
v_mul_f32 v[vgprValuC+74], s[sgprAlpha], v[vgprValuC+74] // *= alpha
v_mul_f32 v[vgprValuC+75], s[sgprAlpha], v[vgprValuC+75] // *= alpha
v_mul_f32 v[vgprValuC+76], s[sgprAlpha], v[vgprValuC+76] // *= alpha
v_mul_f32 v[vgprValuC+77], s[sgprAlpha], v[vgprValuC+77] // *= alpha
v_mul_f32 v[vgprValuC+78], s[sgprAlpha], v[vgprValuC+78] // *= alpha
v_mul_f32 v[vgprValuC+79], s[sgprAlpha], v[vgprValuC+79] // *= alpha
v_mul_f32 v[vgprValuC+80], s[sgprAlpha], v[vgprValuC+80] // *= alpha
v_mul_f32 v[vgprValuC+81], s[sgprAlpha], v[vgprValuC+81] // *= alpha
v_mul_f32 v[vgprValuC+82], s[sgprAlpha], v[vgprValuC+82] // *= alpha
v_mul_f32 v[vgprValuC+83], s[sgprAlpha], v[vgprValuC+83] // *= alpha
v_mul_f32 v[vgprValuC+84], s[sgprAlpha], v[vgprValuC+84] // *= alpha
v_mul_f32 v[vgprValuC+85], s[sgprAlpha], v[vgprValuC+85] // *= alpha
v_mul_f32 v[vgprValuC+86], s[sgprAlpha], v[vgprValuC+86] // *= alpha
v_mul_f32 v[vgprValuC+87], s[sgprAlpha], v[vgprValuC+87] // *= alpha
v_mul_f32 v[vgprValuC+88], s[sgprAlpha], v[vgprValuC+88] // *= alpha
v_mul_f32 v[vgprValuC+89], s[sgprAlpha], v[vgprValuC+89] // *= alpha
v_mul_f32 v[vgprValuC+90], s[sgprAlpha], v[vgprValuC+90] // *= alpha
v_mul_f32 v[vgprValuC+91], s[sgprAlpha], v[vgprValuC+91] // *= alpha
v_mul_f32 v[vgprValuC+92], s[sgprAlpha], v[vgprValuC+92] // *= alpha
v_mul_f32 v[vgprValuC+93], s[sgprAlpha], v[vgprValuC+93] // *= alpha
v_mul_f32 v[vgprValuC+94], s[sgprAlpha], v[vgprValuC+94] // *= alpha
v_mul_f32 v[vgprValuC+95], s[sgprAlpha], v[vgprValuC+95] // *= alpha
v_mul_f32 v[vgprValuC+96], s[sgprAlpha], v[vgprValuC+96] // *= alpha
v_mul_f32 v[vgprValuC+97], s[sgprAlpha], v[vgprValuC+97] // *= alpha
v_mul_f32 v[vgprValuC+98], s[sgprAlpha], v[vgprValuC+98] // *= alpha
v_mul_f32 v[vgprValuC+99], s[sgprAlpha], v[vgprValuC+99] // *= alpha
v_mul_f32 v[vgprValuC+100], s[sgprAlpha], v[vgprValuC+100] // *= alpha
v_mul_f32 v[vgprValuC+101], s[sgprAlpha], v[vgprValuC+101] // *= alpha
v_mul_f32 v[vgprValuC+102], s[sgprAlpha], v[vgprValuC+102] // *= alpha
v_mul_f32 v[vgprValuC+103], s[sgprAlpha], v[vgprValuC+103] // *= alpha
v_mul_f32 v[vgprValuC+104], s[sgprAlpha], v[vgprValuC+104] // *= alpha
v_mul_f32 v[vgprValuC+105], s[sgprAlpha], v[vgprValuC+105] // *= alpha
v_mul_f32 v[vgprValuC+106], s[sgprAlpha], v[vgprValuC+106] // *= alpha
v_mul_f32 v[vgprValuC+107], s[sgprAlpha], v[vgprValuC+107] // *= alpha
v_mul_f32 v[vgprValuC+108], s[sgprAlpha], v[vgprValuC+108] // *= alpha
v_mul_f32 v[vgprValuC+109], s[sgprAlpha], v[vgprValuC+109] // *= alpha
v_mul_f32 v[vgprValuC+110], s[sgprAlpha], v[vgprValuC+110] // *= alpha
v_mul_f32 v[vgprValuC+111], s[sgprAlpha], v[vgprValuC+111] // *= alpha
v_mul_f32 v[vgprValuC+112], s[sgprAlpha], v[vgprValuC+112] // *= alpha
v_mul_f32 v[vgprValuC+113], s[sgprAlpha], v[vgprValuC+113] // *= alpha
v_mul_f32 v[vgprValuC+114], s[sgprAlpha], v[vgprValuC+114] // *= alpha
v_mul_f32 v[vgprValuC+115], s[sgprAlpha], v[vgprValuC+115] // *= alpha
v_mul_f32 v[vgprValuC+116], s[sgprAlpha], v[vgprValuC+116] // *= alpha
v_mul_f32 v[vgprValuC+117], s[sgprAlpha], v[vgprValuC+117] // *= alpha
v_mul_f32 v[vgprValuC+118], s[sgprAlpha], v[vgprValuC+118] // *= alpha
v_mul_f32 v[vgprValuC+119], s[sgprAlpha], v[vgprValuC+119] // *= alpha
v_mul_f32 v[vgprValuC+120], s[sgprAlpha], v[vgprValuC+120] // *= alpha
v_mul_f32 v[vgprValuC+121], s[sgprAlpha], v[vgprValuC+121] // *= alpha
v_mul_f32 v[vgprValuC+122], s[sgprAlpha], v[vgprValuC+122] // *= alpha
v_mul_f32 v[vgprValuC+123], s[sgprAlpha], v[vgprValuC+123] // *= alpha
v_mul_f32 v[vgprValuC+124], s[sgprAlpha], v[vgprValuC+124] // *= alpha
v_mul_f32 v[vgprValuC+125], s[sgprAlpha], v[vgprValuC+125] // *= alpha
v_mul_f32 v[vgprValuC+126], s[sgprAlpha], v[vgprValuC+126] // *= alpha
v_mul_f32 v[vgprValuC+127], s[sgprAlpha], v[vgprValuC+127] // *= alpha
v_mul_f32 v[vgprValuC+128], s[sgprAlpha], v[vgprValuC+128] // *= alpha
v_mul_f32 v[vgprValuC+129], s[sgprAlpha], v[vgprValuC+129] // *= alpha
v_mul_f32 v[vgprValuC+130], s[sgprAlpha], v[vgprValuC+130] // *= alpha
v_mul_f32 v[vgprValuC+131], s[sgprAlpha], v[vgprValuC+131] // *= alpha
v_mul_f32 v[vgprValuC+132], s[sgprAlpha], v[vgprValuC+132] // *= alpha
v_mul_f32 v[vgprValuC+133], s[sgprAlpha], v[vgprValuC+133] // *= alpha
v_mul_f32 v[vgprValuC+134], s[sgprAlpha], v[vgprValuC+134] // *= alpha
v_mul_f32 v[vgprValuC+135], s[sgprAlpha], v[vgprValuC+135] // *= alpha
v_mul_f32 v[vgprValuC+136], s[sgprAlpha], v[vgprValuC+136] // *= alpha
v_mul_f32 v[vgprValuC+137], s[sgprAlpha], v[vgprValuC+137] // *= alpha
v_mul_f32 v[vgprValuC+138], s[sgprAlpha], v[vgprValuC+138] // *= alpha
v_mul_f32 v[vgprValuC+139], s[sgprAlpha], v[vgprValuC+139] // *= alpha

/* apply mask, calc new C and issue writes */
_buffer_store_b128 v[8:11], v6, s[sgprSrdD:sgprSrdD+3], 0, offen, offset:0 // store D
_buffer_store_b128 v[12:15], v6, s[sgprSrdD:sgprSrdD+3], 0, offen, offset:16 // store D
_buffer_store_b128 v[16:19], v6, s[sgprSrdD:sgprSrdD+3], 0, offen, offset:64 // store D
_buffer_store_b128 v[20:23], v6, s[sgprSrdD:sgprSrdD+3], 0, offen, offset:80 // store D
_buffer_store_b128 v[24:27], v6, s[sgprSrdD:sgprSrdD+3], 0, offen, offset:128 // store D
_buffer_store_b128 v[28:31], v6, s[sgprSrdD:sgprSrdD+3], 0, offen, offset:144 // store D
_buffer_store_b128 v[32:35], v6, s[sgprSrdD:sgprSrdD+3], 0, offen, offset:192 // store D
_buffer_store_b128 v[36:39], v6, s[sgprSrdD:sgprSrdD+3], 0, offen, offset:208 // store D
_buffer_store_b128 v[40:43], v6, s[sgprSrdD:sgprSrdD+3], 0, offen, offset:256 // store D
_buffer_store_b128 v[44:47], v6, s[sgprSrdD:sgprSrdD+3], 0, offen, offset:272 // store D
_buffer_store_b128 v[52:55], v6, s[sgprSrdD:sgprSrdD+3], 0, offen, offset:320 // store D
_buffer_store_b128 v[56:59], v6, s[sgprSrdD:sgprSrdD+3], 0, offen, offset:336 // store D
_buffer_store_b128 v[60:63], v6, s[sgprSrdD:sgprSrdD+3], 0, offen, offset:384 // store D
_buffer_store_b128 v[64:67], v6, s[sgprSrdD:sgprSrdD+3], 0, offen, offset:400 // store D
_buffer_store_b128 v[68:71], v6, s[sgprSrdD:sgprSrdD+3], 0, offen, offset:448 // store D
_buffer_store_b128 v[72:75], v6, s[sgprSrdD:sgprSrdD+3], 0, offen, offset:464 // store D
s_lshl_b32  s32, s[sgprStrideD1J], 2               // incToNextRow: Scale by BPE
s_add_u32  s[sgprSrdD+0], s[sgprSrdD+0], s32       // incToNextRow: gra SRD += inc(lower)
s_addc_u32  s[sgprSrdD+1], s[sgprSrdD+1], 0        // incToNextRow: gra SRD += inc(upper)
_buffer_store_b128 v[76:79], v6, s[sgprSrdD:sgprSrdD+3], 0, offen, offset:0 // store D
_buffer_store_b128 v[80:83], v6, s[sgprSrdD:sgprSrdD+3], 0, offen, offset:16 // store D
	;; [unrolled: 1-line block ×16, first 2 shown]
s_nop 0                                            // 1 wait state required when next inst writes vgprs held by previous dwordx4 store inst
s_branch label_GW_End_178                          // jump to end
GW_B0_E1_170:

/* edge=1, allocate 6 sgpr. perBatchTmpS=4 perBatchMaskS=2 perElementMaskS=0 elementsPerBatch=48 */
/* optSingleColVgpr=0 optSharedColVgpr=0 optSGPRUsage=BufferLoad_Edge_Mask optSrdIncForRow=0 */

/******************************************/
/* Global Write Alpha Edge Batch #0 (d1,d0,vc1,vc0) = */
/*    (0,0,0,0:vw4); (0,0,0,4:vw4); (0,1,0,0:vw4); (0,1,0,4:vw4); (0,2,0,0:vw4); (0,2,0,4:vw4); (0,3,0,0:vw4); (0,3,0,4:vw4); (0,4,0,0:vw4); (0,4,0,4:vw4); (0,5,0,0:vw4); (0,5,0,4:vw4); (0,6,0,0:vw4); (0,6,0,4:vw4); (0,7,0,0:vw4); (0,7,0,4:vw4); (0,0,1,0:vw4); (0,0,1,4:vw4); (0,1,1,0:vw4); (0,1,1,4:vw4); (0,2,1,0:vw4); (0,2,1,4:vw4); (0,3,1,0:vw4); (0,3,1,4:vw4); (0,4,1,0:vw4); (0,4,1,4:vw4); (0,5,1,0:vw4); (0,5,1,4:vw4); (0,6,1,0:vw4); (0,6,1,4:vw4); (0,7,1,0:vw4); (0,7,1,4:vw4) */
/******************************************/

/* calc coords, apply mask, and issue loads (if necessary) */
/* (d1,vc1,d0,vc0)=(0,0,0,0) */
v_cmp_lt_u32 s[52:53], v0, s[sgprSizeI]            // coord0 < size0
v_cmp_lt_u32 s[56:57], v1, s[sgprSizeJ]            // coord1 < size1
s_and_b64 s[56:57], s[52:53], s[56:57]             // in0 && in1
_v_add_lshl_u32 v6, v3, v0, 0x2                    // scaleToBpe: accumulate d0 lower and *= bpe into Cin addr
v_cndmask_b32 v6, -1, v6, s[56:57]                 // LDD clip if OOB. offset
/* (d1,vc1,d0,vc0)=(0,0,0,4) */
_v_add_co_u32 v4, vcc, v0, 4                       // coord0.1: coord0 += d0*sg0*VW + vc0
v_cmp_lt_u32 s[52:53], v4, s[sgprSizeI]            // coord0 < size0
v_cmp_lt_u32 s[56:57], v1, s[sgprSizeJ]            // coord1 < size1
s_and_b64 s[56:57], s[52:53], s[56:57]             // in0 && in1
_v_add_lshl_u32 v7, v3, v4, 0x2                    // scaleToBpe: accumulate d0 lower and *= bpe into Cin addr
v_cndmask_b32 v7, -1, v7, s[56:57]                 // LDD clip if OOB. offset
/* (d1,vc1,d0,vc0)=(0,0,1,0) */
_v_add_co_u32 v4, vcc, v0, 16                      // coord0.1: coord0 += d0*sg0*VW + vc0
v_cmp_lt_u32 s[52:53], v4, s[sgprSizeI]            // coord0 < size0
v_cmp_lt_u32 s[56:57], v1, s[sgprSizeJ]            // coord1 < size1
s_and_b64 s[56:57], s[52:53], s[56:57]             // in0 && in1
_v_add_lshl_u32 v16, v3, v4, 0x2                   // scaleToBpe: accumulate d0 lower and *= bpe into Cin addr
v_cndmask_b32 v16, -1, v16, s[56:57]               // LDD clip if OOB. offset
/* (d1,vc1,d0,vc0)=(0,0,1,4) */
_v_add_co_u32 v4, vcc, v0, 20                      // coord0.1: coord0 += d0*sg0*VW + vc0
v_cmp_lt_u32 s[52:53], v4, s[sgprSizeI]            // coord0 < size0
v_cmp_lt_u32 s[56:57], v1, s[sgprSizeJ]            // coord1 < size1
s_and_b64 s[56:57], s[52:53], s[56:57]             // in0 && in1
_v_add_lshl_u32 v17, v3, v4, 0x2                   // scaleToBpe: accumulate d0 lower and *= bpe into Cin addr
v_cndmask_b32 v17, -1, v17, s[56:57]               // LDD clip if OOB. offset
	;; [unrolled: 7-line block ×7, first 2 shown]
/* (d1,vc1,d0,vc0)=(0,0,4,4) */
s_mov_b32 s52, 68                                  // coordOffset0 d0=4 vc0=4
_v_add_co_u32 v4, vcc, v0, s52                     // coord0.2: coord0 += d0*sg0*VW + vc0
v_cmp_lt_u32 s[52:53], v4, s[sgprSizeI]            // coord0 < size0
v_cmp_lt_u32 s[56:57], v1, s[sgprSizeJ]            // coord1 < size1
s_and_b64 s[56:57], s[52:53], s[56:57]             // in0 && in1
_v_add_lshl_u32 v39, v3, v4, 0x2                   // scaleToBpe: accumulate d0 lower and *= bpe into Cin addr
v_cndmask_b32 v39, -1, v39, s[56:57]               // LDD clip if OOB. offset
/* (d1,vc1,d0,vc0)=(0,0,5,0) */
s_mov_b32 s52, 80                                  // coordOffset0 d0=5 vc0=0
_v_add_co_u32 v4, vcc, v0, s52                     // coord0.2: coord0 += d0*sg0*VW + vc0
v_cmp_lt_u32 s[52:53], v4, s[sgprSizeI]            // coord0 < size0
v_cmp_lt_u32 s[56:57], v1, s[sgprSizeJ]            // coord1 < size1
s_and_b64 s[56:57], s[52:53], s[56:57]             // in0 && in1
_v_add_lshl_u32 v51, v3, v4, 0x2                   // scaleToBpe: accumulate d0 lower and *= bpe into Cin addr
v_cndmask_b32 v51, -1, v51, s[56:57]               // LDD clip if OOB. offset
	;; [unrolled: 8-line block ×4, first 2 shown]
/* (d1,vc1,d0,vc0)=(0,0,6,4) */
s_mov_b32 s52, 100                                 // coordOffset0 d0=6 vc0=4
_v_add_co_u32 v4, vcc, v0, s52                     // coord0.2: coord0 += d0*sg0*VW + vc0
v_cmp_lt_u32 s[52:53], v4, s[sgprSizeI]            // coord0 < size0
v_cmp_lt_u32 s[56:57], v1, s[sgprSizeJ]            // coord1 < size1
s_and_b64 s[56:57], s[52:53], s[56:57]             // in0 && in1
_v_add_lshl_u32 v66, v3, v4, 0x2                   // scaleToBpe: accumulate d0 lower and *= bpe into Cin addr
v_cndmask_b32 v66, -1, v66, s[56:57]               // LDD clip if OOB. offset
/* (d1,vc1,d0,vc0)=(0,0,7,0) */
s_mov_b32 s52, 112                                 // coordOffset0 d0=7 vc0=0
_v_add_co_u32 v4, vcc, v0, s52                     // coord0.2: coord0 += d0*sg0*VW + vc0
v_cmp_lt_u32 s[52:53], v4, s[sgprSizeI]            // coord0 < size0
v_cmp_lt_u32 s[56:57], v1, s[sgprSizeJ]            // coord1 < size1
s_and_b64 s[56:57], s[52:53], s[56:57]             // in0 && in1
_v_add_lshl_u32 v67, v3, v4, 0x2                   // scaleToBpe: accumulate d0 lower and *= bpe into Cin addr
v_cndmask_b32 v67, -1, v67, s[56:57]               // LDD clip if OOB. offset
	;; [unrolled: 8-line block ×3, first 2 shown]
/* (d1,vc1,d0,vc0)=(0,1,0,0) */
_v_add_co_u32 v1, vcc, v1, 1                       // coord1.1: coord1Vgpr += d1*sg1*VW + vc1

/* Fix for UseInitialStridesCD, emitAddressSetupCode */
_v_add_u32 v2, v2, s[sgprStrideC1J]                // ROWINC- Move cinRowPtr to next row
_v_add_u32 v3, v3, s[sgprStrideD1J]                // Move coutRowPtr to next row
v_cmp_lt_u32 s[52:53], v0, s[sgprSizeI]            // coord0 < size0
v_cmp_lt_u32 s[56:57], v1, s[sgprSizeJ]            // coord1 < size1
s_and_b64 s[56:57], s[52:53], s[56:57]             // in0 && in1
_v_add_lshl_u32 v85, v3, v0, 0x2                   // scaleToBpe: accumulate d0 lower and *= bpe into Cin addr
v_cndmask_b32 v85, -1, v85, s[56:57]               // LDD clip if OOB. offset
/* (d1,vc1,d0,vc0)=(0,1,0,4) */
_v_add_co_u32 v4, vcc, v0, 4                       // coord0.1: coord0 += d0*sg0*VW + vc0
v_cmp_lt_u32 s[52:53], v4, s[sgprSizeI]            // coord0 < size0
v_cmp_lt_u32 s[56:57], v1, s[sgprSizeJ]            // coord1 < size1
s_and_b64 s[56:57], s[52:53], s[56:57]             // in0 && in1
_v_add_lshl_u32 v86, v3, v4, 0x2                   // scaleToBpe: accumulate d0 lower and *= bpe into Cin addr
v_cndmask_b32 v86, -1, v86, s[56:57]               // LDD clip if OOB. offset
/* (d1,vc1,d0,vc0)=(0,1,1,0) */
_v_add_co_u32 v4, vcc, v0, 16                      // coord0.1: coord0 += d0*sg0*VW + vc0
v_cmp_lt_u32 s[52:53], v4, s[sgprSizeI]            // coord0 < size0
v_cmp_lt_u32 s[56:57], v1, s[sgprSizeJ]            // coord1 < size1
s_and_b64 s[56:57], s[52:53], s[56:57]             // in0 && in1
_v_add_lshl_u32 v87, v3, v4, 0x2                   // scaleToBpe: accumulate d0 lower and *= bpe into Cin addr
v_cndmask_b32 v87, -1, v87, s[56:57]               // LDD clip if OOB. offset
/* (d1,vc1,d0,vc0)=(0,1,1,4) */
_v_add_co_u32 v4, vcc, v0, 20                      // coord0.1: coord0 += d0*sg0*VW + vc0
v_cmp_lt_u32 s[52:53], v4, s[sgprSizeI]            // coord0 < size0
v_cmp_lt_u32 s[56:57], v1, s[sgprSizeJ]            // coord1 < size1
s_and_b64 s[56:57], s[52:53], s[56:57]             // in0 && in1
_v_add_lshl_u32 v104, v3, v4, 0x2                  // scaleToBpe: accumulate d0 lower and *= bpe into Cin addr
v_cndmask_b32 v104, -1, v104, s[56:57]             // LDD clip if OOB. offset
/* (d1,vc1,d0,vc0)=(0,1,2,0) */
_v_add_co_u32 v4, vcc, v0, 32                      // coord0.1: coord0 += d0*sg0*VW + vc0
v_cmp_lt_u32 s[52:53], v4, s[sgprSizeI]            // coord0 < size0
v_cmp_lt_u32 s[56:57], v1, s[sgprSizeJ]            // coord1 < size1
s_and_b64 s[56:57], s[52:53], s[56:57]             // in0 && in1
_v_add_lshl_u32 v105, v3, v4, 0x2                  // scaleToBpe: accumulate d0 lower and *= bpe into Cin addr
v_cndmask_b32 v105, -1, v105, s[56:57]             // LDD clip if OOB. offset
	;; [unrolled: 7-line block ×6, first 2 shown]
/* (d1,vc1,d0,vc0)=(0,1,4,4) */
s_mov_b32 s52, 68                                  // coordOffset0 d0=4 vc0=4
_v_add_co_u32 v4, vcc, v0, s52                     // coord0.2: coord0 += d0*sg0*VW + vc0
v_cmp_lt_u32 s[52:53], v4, s[sgprSizeI]            // coord0 < size0
v_cmp_lt_u32 s[56:57], v1, s[sgprSizeJ]            // coord1 < size1
s_and_b64 s[56:57], s[52:53], s[56:57]             // in0 && in1
_v_add_lshl_u32 v126, v3, v4, 0x2                  // scaleToBpe: accumulate d0 lower and *= bpe into Cin addr
v_cndmask_b32 v126, -1, v126, s[56:57]             // LDD clip if OOB. offset
/* (d1,vc1,d0,vc0)=(0,1,5,0) */
s_mov_b32 s52, 80                                  // coordOffset0 d0=5 vc0=0
_v_add_co_u32 v4, vcc, v0, s52                     // coord0.2: coord0 += d0*sg0*VW + vc0
v_cmp_lt_u32 s[52:53], v4, s[sgprSizeI]            // coord0 < size0
v_cmp_lt_u32 s[56:57], v1, s[sgprSizeJ]            // coord1 < size1
s_and_b64 s[56:57], s[52:53], s[56:57]             // in0 && in1
_v_add_lshl_u32 v127, v3, v4, 0x2                  // scaleToBpe: accumulate d0 lower and *= bpe into Cin addr
v_cndmask_b32 v127, -1, v127, s[56:57]             // LDD clip if OOB. offset
	;; [unrolled: 8-line block ×4, first 2 shown]
/* (d1,vc1,d0,vc0)=(0,1,6,4) */
s_mov_b32 s52, 100                                 // coordOffset0 d0=6 vc0=4
_v_add_co_u32 v4, vcc, v0, s52                     // coord0.2: coord0 += d0*sg0*VW + vc0
v_cmp_lt_u32 s[52:53], v4, s[sgprSizeI]            // coord0 < size0
v_cmp_lt_u32 s[56:57], v1, s[sgprSizeJ]            // coord1 < size1
s_and_b64 s[56:57], s[52:53], s[56:57]             // in0 && in1
_v_add_lshl_u32 v146, v3, v4, 0x2                  // scaleToBpe: accumulate d0 lower and *= bpe into Cin addr
v_cndmask_b32 v146, -1, v146, s[56:57]             // LDD clip if OOB. offset
/* (d1,vc1,d0,vc0)=(0,1,7,0) */
s_mov_b32 s52, 112                                 // coordOffset0 d0=7 vc0=0
_v_add_co_u32 v4, vcc, v0, s52                     // coord0.2: coord0 += d0*sg0*VW + vc0
v_cmp_lt_u32 s[52:53], v4, s[sgprSizeI]            // coord0 < size0
v_cmp_lt_u32 s[56:57], v1, s[sgprSizeJ]            // coord1 < size1
s_and_b64 s[56:57], s[52:53], s[56:57]             // in0 && in1
_v_add_lshl_u32 v147, v3, v4, 0x2                  // scaleToBpe: accumulate d0 lower and *= bpe into Cin addr
v_cndmask_b32 v147, -1, v147, s[56:57]             // LDD clip if OOB. offset
	;; [unrolled: 8-line block ×3, first 2 shown]
v_accvgpr_read_b32 v[vgprValuC+8], acc0 // copy acc to vreg[0]
v_accvgpr_read_b32 v[vgprValuC+9], acc32 // copy acc to vreg[1]
v_accvgpr_read_b32 v[vgprValuC+10], acc1 // copy acc to vreg[2]
v_accvgpr_read_b32 v[vgprValuC+11], acc33 // copy acc to vreg[3]
v_accvgpr_read_b32 v[vgprValuC+12], acc2 // copy acc to vreg[4]
v_accvgpr_read_b32 v[vgprValuC+13], acc34 // copy acc to vreg[5]
v_accvgpr_read_b32 v[vgprValuC+14], acc3 // copy acc to vreg[6]
v_accvgpr_read_b32 v[vgprValuC+15], acc35 // copy acc to vreg[7]
v_accvgpr_read_b32 v[vgprValuC+20], acc4 // copy acc to vreg[8]
v_accvgpr_read_b32 v[vgprValuC+21], acc36 // copy acc to vreg[9]
v_accvgpr_read_b32 v[vgprValuC+22], acc5 // copy acc to vreg[10]
v_accvgpr_read_b32 v[vgprValuC+23], acc37 // copy acc to vreg[11]
v_accvgpr_read_b32 v[vgprValuC+24], acc6 // copy acc to vreg[12]
v_accvgpr_read_b32 v[vgprValuC+25], acc38 // copy acc to vreg[13]
v_accvgpr_read_b32 v[vgprValuC+26], acc7 // copy acc to vreg[14]
v_accvgpr_read_b32 v[vgprValuC+27], acc39 // copy acc to vreg[15]
v_accvgpr_read_b32 v[vgprValuC+28], acc8 // copy acc to vreg[16]
v_accvgpr_read_b32 v[vgprValuC+29], acc40 // copy acc to vreg[17]
v_accvgpr_read_b32 v[vgprValuC+30], acc9 // copy acc to vreg[18]
v_accvgpr_read_b32 v[vgprValuC+31], acc41 // copy acc to vreg[19]
v_accvgpr_read_b32 v[vgprValuC+32], acc10 // copy acc to vreg[20]
v_accvgpr_read_b32 v[vgprValuC+33], acc42 // copy acc to vreg[21]
v_accvgpr_read_b32 v[vgprValuC+34], acc11 // copy acc to vreg[22]
v_accvgpr_read_b32 v[vgprValuC+35], acc43 // copy acc to vreg[23]
v_accvgpr_read_b32 v[vgprValuC+40], acc12 // copy acc to vreg[24]
v_accvgpr_read_b32 v[vgprValuC+41], acc44 // copy acc to vreg[25]
v_accvgpr_read_b32 v[vgprValuC+42], acc13 // copy acc to vreg[26]
v_accvgpr_read_b32 v[vgprValuC+43], acc45 // copy acc to vreg[27]
v_accvgpr_read_b32 v[vgprValuC+44], acc14 // copy acc to vreg[28]
v_accvgpr_read_b32 v[vgprValuC+45], acc46 // copy acc to vreg[29]
v_accvgpr_read_b32 v[vgprValuC+46], acc15 // copy acc to vreg[30]
v_accvgpr_read_b32 v[vgprValuC+47], acc47 // copy acc to vreg[31]
v_accvgpr_read_b32 v[vgprValuC+52], acc16 // copy acc to vreg[32]
v_accvgpr_read_b32 v[vgprValuC+53], acc48 // copy acc to vreg[33]
v_accvgpr_read_b32 v[vgprValuC+54], acc17 // copy acc to vreg[34]
v_accvgpr_read_b32 v[vgprValuC+55], acc49 // copy acc to vreg[35]
v_accvgpr_read_b32 v[vgprValuC+56], acc18 // copy acc to vreg[36]
v_accvgpr_read_b32 v[vgprValuC+57], acc50 // copy acc to vreg[37]
v_accvgpr_read_b32 v[vgprValuC+58], acc19 // copy acc to vreg[38]
v_accvgpr_read_b32 v[vgprValuC+59], acc51 // copy acc to vreg[39]
v_accvgpr_read_b32 v[vgprValuC+60], acc20 // copy acc to vreg[40]
v_accvgpr_read_b32 v[vgprValuC+61], acc52 // copy acc to vreg[41]
v_accvgpr_read_b32 v[vgprValuC+62], acc21 // copy acc to vreg[42]
v_accvgpr_read_b32 v[vgprValuC+63], acc53 // copy acc to vreg[43]
v_accvgpr_read_b32 v[vgprValuC+68], acc22 // copy acc to vreg[44]
v_accvgpr_read_b32 v[vgprValuC+69], acc54 // copy acc to vreg[45]
v_accvgpr_read_b32 v[vgprValuC+70], acc23 // copy acc to vreg[46]
v_accvgpr_read_b32 v[vgprValuC+71], acc55 // copy acc to vreg[47]
v_accvgpr_read_b32 v[vgprValuC+72], acc24 // copy acc to vreg[48]
v_accvgpr_read_b32 v[vgprValuC+73], acc56 // copy acc to vreg[49]
v_accvgpr_read_b32 v[vgprValuC+74], acc25 // copy acc to vreg[50]
v_accvgpr_read_b32 v[vgprValuC+75], acc57 // copy acc to vreg[51]
v_accvgpr_read_b32 v[vgprValuC+76], acc26 // copy acc to vreg[52]
v_accvgpr_read_b32 v[vgprValuC+77], acc58 // copy acc to vreg[53]
v_accvgpr_read_b32 v[vgprValuC+78], acc27 // copy acc to vreg[54]
v_accvgpr_read_b32 v[vgprValuC+79], acc59 // copy acc to vreg[55]
v_accvgpr_read_b32 v[vgprValuC+80], acc28 // copy acc to vreg[56]
v_accvgpr_read_b32 v[vgprValuC+81], acc60 // copy acc to vreg[57]
v_accvgpr_read_b32 v[vgprValuC+82], acc29 // copy acc to vreg[58]
v_accvgpr_read_b32 v[vgprValuC+83], acc61 // copy acc to vreg[59]
v_accvgpr_read_b32 v[vgprValuC+88], acc30 // copy acc to vreg[60]
v_accvgpr_read_b32 v[vgprValuC+89], acc62 // copy acc to vreg[61]
v_accvgpr_read_b32 v[vgprValuC+90], acc31 // copy acc to vreg[62]
v_accvgpr_read_b32 v[vgprValuC+91], acc63 // copy acc to vreg[63]
v_accvgpr_read_b32 v[vgprValuC+92], acc64 // copy acc to vreg[64]
v_accvgpr_read_b32 v[vgprValuC+93], acc96 // copy acc to vreg[65]
v_accvgpr_read_b32 v[vgprValuC+94], acc65 // copy acc to vreg[66]
v_accvgpr_read_b32 v[vgprValuC+95], acc97 // copy acc to vreg[67]
v_accvgpr_read_b32 v[vgprValuC+96], acc66 // copy acc to vreg[68]
v_accvgpr_read_b32 v[vgprValuC+97], acc98 // copy acc to vreg[69]
v_accvgpr_read_b32 v[vgprValuC+98], acc67 // copy acc to vreg[70]
v_accvgpr_read_b32 v[vgprValuC+99], acc99 // copy acc to vreg[71]
v_accvgpr_read_b32 v[vgprValuC+100], acc68 // copy acc to vreg[72]
v_accvgpr_read_b32 v[vgprValuC+101], acc100 // copy acc to vreg[73]
v_accvgpr_read_b32 v[vgprValuC+102], acc69 // copy acc to vreg[74]
v_accvgpr_read_b32 v[vgprValuC+103], acc101 // copy acc to vreg[75]
v_accvgpr_read_b32 v[vgprValuC+108], acc70 // copy acc to vreg[76]
v_accvgpr_read_b32 v[vgprValuC+109], acc102 // copy acc to vreg[77]
v_accvgpr_read_b32 v[vgprValuC+110], acc71 // copy acc to vreg[78]
v_accvgpr_read_b32 v[vgprValuC+111], acc103 // copy acc to vreg[79]
v_accvgpr_read_b32 v[vgprValuC+112], acc72 // copy acc to vreg[80]
v_accvgpr_read_b32 v[vgprValuC+113], acc104 // copy acc to vreg[81]
v_accvgpr_read_b32 v[vgprValuC+114], acc73 // copy acc to vreg[82]
v_accvgpr_read_b32 v[vgprValuC+115], acc105 // copy acc to vreg[83]
v_accvgpr_read_b32 v[vgprValuC+116], acc74 // copy acc to vreg[84]
v_accvgpr_read_b32 v[vgprValuC+117], acc106 // copy acc to vreg[85]
v_accvgpr_read_b32 v[vgprValuC+118], acc75 // copy acc to vreg[86]
v_accvgpr_read_b32 v[vgprValuC+119], acc107 // copy acc to vreg[87]
v_accvgpr_read_b32 v[vgprValuC+120], acc76 // copy acc to vreg[88]
v_accvgpr_read_b32 v[vgprValuC+121], acc108 // copy acc to vreg[89]
v_accvgpr_read_b32 v[vgprValuC+122], acc77 // copy acc to vreg[90]
v_accvgpr_read_b32 v[vgprValuC+123], acc109 // copy acc to vreg[91]
v_accvgpr_read_b32 v[vgprValuC+128], acc78 // copy acc to vreg[92]
v_accvgpr_read_b32 v[vgprValuC+129], acc110 // copy acc to vreg[93]
v_accvgpr_read_b32 v[vgprValuC+130], acc79 // copy acc to vreg[94]
v_accvgpr_read_b32 v[vgprValuC+131], acc111 // copy acc to vreg[95]
v_accvgpr_read_b32 v[vgprValuC+132], acc80 // copy acc to vreg[96]
v_accvgpr_read_b32 v[vgprValuC+133], acc112 // copy acc to vreg[97]
v_accvgpr_read_b32 v[vgprValuC+134], acc81 // copy acc to vreg[98]
v_accvgpr_read_b32 v[vgprValuC+135], acc113 // copy acc to vreg[99]
v_accvgpr_read_b32 v[vgprValuC+136], acc82 // copy acc to vreg[100]
v_accvgpr_read_b32 v[vgprValuC+137], acc114 // copy acc to vreg[101]
v_accvgpr_read_b32 v[vgprValuC+138], acc83 // copy acc to vreg[102]
v_accvgpr_read_b32 v[vgprValuC+139], acc115 // copy acc to vreg[103]
v_accvgpr_read_b32 v[vgprValuC+140], acc84 // copy acc to vreg[104]
v_accvgpr_read_b32 v[vgprValuC+141], acc116 // copy acc to vreg[105]
v_accvgpr_read_b32 v[vgprValuC+142], acc85 // copy acc to vreg[106]
v_accvgpr_read_b32 v[vgprValuC+143], acc117 // copy acc to vreg[107]
v_accvgpr_read_b32 v[vgprValuC+148], acc86 // copy acc to vreg[108]
v_accvgpr_read_b32 v[vgprValuC+149], acc118 // copy acc to vreg[109]
v_accvgpr_read_b32 v[vgprValuC+150], acc87 // copy acc to vreg[110]
v_accvgpr_read_b32 v[vgprValuC+151], acc119 // copy acc to vreg[111]
v_accvgpr_read_b32 v[vgprValuC+152], acc88 // copy acc to vreg[112]
v_accvgpr_read_b32 v[vgprValuC+153], acc120 // copy acc to vreg[113]
v_accvgpr_read_b32 v[vgprValuC+154], acc89 // copy acc to vreg[114]
v_accvgpr_read_b32 v[vgprValuC+155], acc121 // copy acc to vreg[115]
v_accvgpr_read_b32 v[vgprValuC+156], acc90 // copy acc to vreg[116]
v_accvgpr_read_b32 v[vgprValuC+157], acc122 // copy acc to vreg[117]
v_accvgpr_read_b32 v[vgprValuC+158], acc91 // copy acc to vreg[118]
v_accvgpr_read_b32 v[vgprValuC+159], acc123 // copy acc to vreg[119]
v_accvgpr_read_b32 v[vgprValuC+160], acc92 // copy acc to vreg[120]
v_accvgpr_read_b32 v[vgprValuC+161], acc124 // copy acc to vreg[121]
v_accvgpr_read_b32 v[vgprValuC+162], acc93 // copy acc to vreg[122]
v_accvgpr_read_b32 v[vgprValuC+163], acc125 // copy acc to vreg[123]
v_accvgpr_read_b32 v[vgprValuC+168], acc94 // copy acc to vreg[124]
v_accvgpr_read_b32 v[vgprValuC+169], acc126 // copy acc to vreg[125]
v_accvgpr_read_b32 v[vgprValuC+170], acc95 // copy acc to vreg[126]
v_accvgpr_read_b32 v[vgprValuC+171], acc127 // copy acc to vreg[127]
s_nop 1                                            // 2 wait states required before reading vgpr

/* rC *= alpha batchElements=[(0, 0, 0, 0), (0, 0, 0, 4), (0, 1, 0, 0), (0, 1, 0, 4), (0, 2, 0, 0), (0, 2, 0, 4), (0, 3, 0, 0), (0, 3, 0, 4), (0, 4, 0, 0), (0, 4, 0, 4), (0, 5, 0, 0), (0, 5, 0, 4), (0, 6, 0, 0), (0, 6, 0, 4), (0, 7, 0, 0), (0, 7, 0, 4), (0, 0, 1, 0), (0, 0, 1, 4), (0, 1, 1, 0), (0, 1, 1, 4), (0, 2, 1, 0), (0, 2, 1, 4), (0, 3, 1, 0), (0, 3, 1, 4), (0, 4, 1, 0), (0, 4, 1, 4), (0, 5, 1, 0), (0, 5, 1, 4), (0, 6, 1, 0), (0, 6, 1, 4), (0, 7, 1, 0), (0, 7, 1, 4)] */
v_mul_f32 v[vgprValuC+8], s[sgprAlpha], v[vgprValuC+8] // *= alpha
v_mul_f32 v[vgprValuC+9], s[sgprAlpha], v[vgprValuC+9] // *= alpha
	;; [unrolled: 1-line block ×128, first 2 shown]

/* apply mask, calc new C and issue writes */
_buffer_store_b128 v[8:11], v6, s[sgprSrdD:sgprSrdD+3], 0, offen, offset:0 // store D
_buffer_store_b128 v[12:15], v7, s[sgprSrdD:sgprSrdD+3], 0, offen, offset:0 // store D
	;; [unrolled: 1-line block ×32, first 2 shown]
s_nop 0                                            // 1 wait state required when next inst writes vgprs held by previous dwordx4 store inst
s_branch label_GW_End_178                          // jump to end
GW_Beta_179:
s_and_b32 s32, 255, s[sgprSizeI]                   // s32 = s[sgprSizeI] % 256
s_add_u32 s33, -0x1, s[sgprNumWorkGroups0]         // 
s_cmp_ge_u32 s[sgprWorkGroup0], s33                // wg0 >= nwg0-1 ?
s_cselect_b32 s32, s32, 0                          // set rMT0
s_cmpk_gt_u32 s32, 0x0                             // rMT0 > 0
s_cbranch_scc1 GW_B1_E1_177                        // jump if edges required
s_and_b32 s32, 127, s[sgprSizeJ]                   // s32 = s[sgprSizeJ] % 128
s_add_u32 s33, -0x1, s[sgprNumWorkGroups1]         // 
s_cmp_ge_u32 s[sgprWorkGroup1], s33                // wg1 >= nwg1-1
s_cselect_b32 s32, s32, 0                          // set rMT1
s_cmpk_gt_u32 s32, 0x0                             // rMT1 > 0
s_cbranch_scc1 GW_B1_E1_177                        // jump if edges required
GW_B1_E0_174:

/* edge=0, allocate 2 sgpr. perBatchTmpS=2 perBatchMaskS=0 perElementMaskS=0 elementsPerBatch=30 */
/* optSingleColVgpr=1 optSharedColVgpr=0 optSGPRUsage=BufferLoad_Mask optSrdIncForRow=1 */

/******************************************/
/* Global Write Alpha Beta Batch #0 (d1,d0,vc1,vc0) = */
/*    (0,0,0,0:vw4); (0,0,0,4:vw4); (0,1,0,0:vw4); (0,1,0,4:vw4); (0,2,0,0:vw4); (0,2,0,4:vw4); (0,3,0,0:vw4); (0,3,0,4:vw4); (0,4,0,0:vw4); (0,4,0,4:vw4); (0,5,0,0:vw4); (0,5,0,4:vw4); (0,6,0,0:vw4); (0,6,0,4:vw4); (0,7,0,0:vw4); (0,7,0,4:vw4); (0,0,1,0:vw4); (0,0,1,4:vw4); (0,1,1,0:vw4); (0,1,1,4:vw4); (0,2,1,0:vw4); (0,2,1,4:vw4); (0,3,1,0:vw4); (0,3,1,4:vw4); (0,4,1,0:vw4); (0,4,1,4:vw4); (0,5,1,0:vw4); (0,5,1,4:vw4); (0,6,1,0:vw4); (0,6,1,4:vw4) */
/******************************************/

/* calc coords, apply mask, and issue loads (if necessary) */
/* (d1,vc1,d0,vc0)=(0,0,0,0) */
_v_add_lshl_u32 v7, v2, v0, 0x2                    // optSingleColVgpr scaleToBpe: sharedAddrVgpr <- cinRowPtr + coord0, scaled by BPE. BSHERE:coord0=0, coord0Vgpr=0
_buffer_load_b128 v[8:11], v7, s[sgprSrdC:sgprSrdC+3], 0, offen offset:0 // load C for beta calc
/* (d1,vc1,d0,vc0)=(0,0,0,4) */
_buffer_load_b128 v[16:19], v7, s[sgprSrdC:sgprSrdC+3], 0, offen offset:16 // load C for beta calc
/* (d1,vc1,d0,vc0)=(0,0,1,0) */
	;; [unrolled: 2-line block ×16, first 2 shown]
s_lshl_b32  s32, s[sgprStrideC1J], 2               // incToNextRow: Scale by BPE
s_add_u32  s[sgprSrdC+0], s[sgprSrdC+0], s32       // incToNextRow: gra SRD += inc(lower)
s_addc_u32  s[sgprSrdC+1], s[sgprSrdC+1], 0        // incToNextRow: gra SRD += inc(upper)
_buffer_load_b128 v[140:143], v7, s[sgprSrdC:sgprSrdC+3], 0, offen offset:0 // load C for beta calc
/* (d1,vc1,d0,vc0)=(0,1,0,4) */
_buffer_load_b128 v[148:151], v7, s[sgprSrdC:sgprSrdC+3], 0, offen offset:16 // load C for beta calc
/* (d1,vc1,d0,vc0)=(0,1,1,0) */
	;; [unrolled: 2-line block ×13, first 2 shown]
_buffer_load_b128 v[244:247], v7, s[sgprSrdC:sgprSrdC+3], 0, offen offset:400 // load C for beta calc
_v_add_lshl_u32 v6, v3, v0, 0x2                    // optSingleColVgpr scaleToBpe: sharedAddrVgpr <- cinRowPtr + coord0, scaled by BPE. BSHERE:coord0=0, coord0Vgpr=0
v_accvgpr_read_b32 v[vgprValuC+12], acc0 // copy acc to vreg[0]
v_accvgpr_read_b32 v[vgprValuC+13], acc32 // copy acc to vreg[1]
v_accvgpr_read_b32 v[vgprValuC+14], acc1 // copy acc to vreg[2]
v_accvgpr_read_b32 v[vgprValuC+15], acc33 // copy acc to vreg[3]
v_accvgpr_read_b32 v[vgprValuC+20], acc2 // copy acc to vreg[4]
v_accvgpr_read_b32 v[vgprValuC+21], acc34 // copy acc to vreg[5]
v_accvgpr_read_b32 v[vgprValuC+22], acc3 // copy acc to vreg[6]
v_accvgpr_read_b32 v[vgprValuC+23], acc35 // copy acc to vreg[7]
v_accvgpr_read_b32 v[vgprValuC+28], acc4 // copy acc to vreg[8]
v_accvgpr_read_b32 v[vgprValuC+29], acc36 // copy acc to vreg[9]
v_accvgpr_read_b32 v[vgprValuC+30], acc5 // copy acc to vreg[10]
v_accvgpr_read_b32 v[vgprValuC+31], acc37 // copy acc to vreg[11]
v_accvgpr_read_b32 v[vgprValuC+36], acc6 // copy acc to vreg[12]
v_accvgpr_read_b32 v[vgprValuC+37], acc38 // copy acc to vreg[13]
v_accvgpr_read_b32 v[vgprValuC+38], acc7 // copy acc to vreg[14]
v_accvgpr_read_b32 v[vgprValuC+39], acc39 // copy acc to vreg[15]
v_accvgpr_read_b32 v[vgprValuC+44], acc8 // copy acc to vreg[16]
v_accvgpr_read_b32 v[vgprValuC+45], acc40 // copy acc to vreg[17]
v_accvgpr_read_b32 v[vgprValuC+46], acc9 // copy acc to vreg[18]
v_accvgpr_read_b32 v[vgprValuC+47], acc41 // copy acc to vreg[19]
v_accvgpr_read_b32 v[vgprValuC+56], acc10 // copy acc to vreg[20]
v_accvgpr_read_b32 v[vgprValuC+57], acc42 // copy acc to vreg[21]
v_accvgpr_read_b32 v[vgprValuC+58], acc11 // copy acc to vreg[22]
v_accvgpr_read_b32 v[vgprValuC+59], acc43 // copy acc to vreg[23]
v_accvgpr_read_b32 v[vgprValuC+64], acc12 // copy acc to vreg[24]
v_accvgpr_read_b32 v[vgprValuC+65], acc44 // copy acc to vreg[25]
v_accvgpr_read_b32 v[vgprValuC+66], acc13 // copy acc to vreg[26]
v_accvgpr_read_b32 v[vgprValuC+67], acc45 // copy acc to vreg[27]
v_accvgpr_read_b32 v[vgprValuC+72], acc14 // copy acc to vreg[28]
v_accvgpr_read_b32 v[vgprValuC+73], acc46 // copy acc to vreg[29]
v_accvgpr_read_b32 v[vgprValuC+74], acc15 // copy acc to vreg[30]
v_accvgpr_read_b32 v[vgprValuC+75], acc47 // copy acc to vreg[31]
v_accvgpr_read_b32 v[vgprValuC+80], acc16 // copy acc to vreg[32]
v_accvgpr_read_b32 v[vgprValuC+81], acc48 // copy acc to vreg[33]
v_accvgpr_read_b32 v[vgprValuC+82], acc17 // copy acc to vreg[34]
v_accvgpr_read_b32 v[vgprValuC+83], acc49 // copy acc to vreg[35]
v_accvgpr_read_b32 v[vgprValuC+88], acc18 // copy acc to vreg[36]
v_accvgpr_read_b32 v[vgprValuC+89], acc50 // copy acc to vreg[37]
v_accvgpr_read_b32 v[vgprValuC+90], acc19 // copy acc to vreg[38]
v_accvgpr_read_b32 v[vgprValuC+91], acc51 // copy acc to vreg[39]
v_accvgpr_read_b32 v[vgprValuC+96], acc20 // copy acc to vreg[40]
v_accvgpr_read_b32 v[vgprValuC+97], acc52 // copy acc to vreg[41]
v_accvgpr_read_b32 v[vgprValuC+98], acc21 // copy acc to vreg[42]
v_accvgpr_read_b32 v[vgprValuC+99], acc53 // copy acc to vreg[43]
v_accvgpr_read_b32 v[vgprValuC+104], acc22 // copy acc to vreg[44]
v_accvgpr_read_b32 v[vgprValuC+105], acc54 // copy acc to vreg[45]
v_accvgpr_read_b32 v[vgprValuC+106], acc23 // copy acc to vreg[46]
v_accvgpr_read_b32 v[vgprValuC+107], acc55 // copy acc to vreg[47]
v_accvgpr_read_b32 v[vgprValuC+112], acc24 // copy acc to vreg[48]
v_accvgpr_read_b32 v[vgprValuC+113], acc56 // copy acc to vreg[49]
v_accvgpr_read_b32 v[vgprValuC+114], acc25 // copy acc to vreg[50]
v_accvgpr_read_b32 v[vgprValuC+115], acc57 // copy acc to vreg[51]
v_accvgpr_read_b32 v[vgprValuC+120], acc26 // copy acc to vreg[52]
v_accvgpr_read_b32 v[vgprValuC+121], acc58 // copy acc to vreg[53]
v_accvgpr_read_b32 v[vgprValuC+122], acc27 // copy acc to vreg[54]
v_accvgpr_read_b32 v[vgprValuC+123], acc59 // copy acc to vreg[55]
v_accvgpr_read_b32 v[vgprValuC+128], acc28 // copy acc to vreg[56]
v_accvgpr_read_b32 v[vgprValuC+129], acc60 // copy acc to vreg[57]
v_accvgpr_read_b32 v[vgprValuC+130], acc29 // copy acc to vreg[58]
v_accvgpr_read_b32 v[vgprValuC+131], acc61 // copy acc to vreg[59]
v_accvgpr_read_b32 v[vgprValuC+136], acc30 // copy acc to vreg[60]
v_accvgpr_read_b32 v[vgprValuC+137], acc62 // copy acc to vreg[61]
v_accvgpr_read_b32 v[vgprValuC+138], acc31 // copy acc to vreg[62]
v_accvgpr_read_b32 v[vgprValuC+139], acc63 // copy acc to vreg[63]
v_accvgpr_read_b32 v[vgprValuC+144], acc64 // copy acc to vreg[64]
v_accvgpr_read_b32 v[vgprValuC+145], acc96 // copy acc to vreg[65]
v_accvgpr_read_b32 v[vgprValuC+146], acc65 // copy acc to vreg[66]
v_accvgpr_read_b32 v[vgprValuC+147], acc97 // copy acc to vreg[67]
v_accvgpr_read_b32 v[vgprValuC+152], acc66 // copy acc to vreg[68]
v_accvgpr_read_b32 v[vgprValuC+153], acc98 // copy acc to vreg[69]
v_accvgpr_read_b32 v[vgprValuC+154], acc67 // copy acc to vreg[70]
v_accvgpr_read_b32 v[vgprValuC+155], acc99 // copy acc to vreg[71]
v_accvgpr_read_b32 v[vgprValuC+160], acc68 // copy acc to vreg[72]
v_accvgpr_read_b32 v[vgprValuC+161], acc100 // copy acc to vreg[73]
v_accvgpr_read_b32 v[vgprValuC+162], acc69 // copy acc to vreg[74]
v_accvgpr_read_b32 v[vgprValuC+163], acc101 // copy acc to vreg[75]
v_accvgpr_read_b32 v[vgprValuC+168], acc70 // copy acc to vreg[76]
v_accvgpr_read_b32 v[vgprValuC+169], acc102 // copy acc to vreg[77]
v_accvgpr_read_b32 v[vgprValuC+170], acc71 // copy acc to vreg[78]
v_accvgpr_read_b32 v[vgprValuC+171], acc103 // copy acc to vreg[79]
v_accvgpr_read_b32 v[vgprValuC+176], acc72 // copy acc to vreg[80]
v_accvgpr_read_b32 v[vgprValuC+177], acc104 // copy acc to vreg[81]
v_accvgpr_read_b32 v[vgprValuC+178], acc73 // copy acc to vreg[82]
v_accvgpr_read_b32 v[vgprValuC+179], acc105 // copy acc to vreg[83]
v_accvgpr_read_b32 v[vgprValuC+184], acc74 // copy acc to vreg[84]
v_accvgpr_read_b32 v[vgprValuC+185], acc106 // copy acc to vreg[85]
v_accvgpr_read_b32 v[vgprValuC+186], acc75 // copy acc to vreg[86]
v_accvgpr_read_b32 v[vgprValuC+187], acc107 // copy acc to vreg[87]
v_accvgpr_read_b32 v[vgprValuC+192], acc76 // copy acc to vreg[88]
v_accvgpr_read_b32 v[vgprValuC+193], acc108 // copy acc to vreg[89]
v_accvgpr_read_b32 v[vgprValuC+194], acc77 // copy acc to vreg[90]
v_accvgpr_read_b32 v[vgprValuC+195], acc109 // copy acc to vreg[91]
v_accvgpr_read_b32 v[vgprValuC+200], acc78 // copy acc to vreg[92]
v_accvgpr_read_b32 v[vgprValuC+201], acc110 // copy acc to vreg[93]
v_accvgpr_read_b32 v[vgprValuC+202], acc79 // copy acc to vreg[94]
v_accvgpr_read_b32 v[vgprValuC+203], acc111 // copy acc to vreg[95]
v_accvgpr_read_b32 v[vgprValuC+208], acc80 // copy acc to vreg[96]
v_accvgpr_read_b32 v[vgprValuC+209], acc112 // copy acc to vreg[97]
v_accvgpr_read_b32 v[vgprValuC+210], acc81 // copy acc to vreg[98]
v_accvgpr_read_b32 v[vgprValuC+211], acc113 // copy acc to vreg[99]
v_accvgpr_read_b32 v[vgprValuC+216], acc82 // copy acc to vreg[100]
v_accvgpr_read_b32 v[vgprValuC+217], acc114 // copy acc to vreg[101]
v_accvgpr_read_b32 v[vgprValuC+218], acc83 // copy acc to vreg[102]
v_accvgpr_read_b32 v[vgprValuC+219], acc115 // copy acc to vreg[103]
v_accvgpr_read_b32 v[vgprValuC+224], acc84 // copy acc to vreg[104]
v_accvgpr_read_b32 v[vgprValuC+225], acc116 // copy acc to vreg[105]
v_accvgpr_read_b32 v[vgprValuC+226], acc85 // copy acc to vreg[106]
v_accvgpr_read_b32 v[vgprValuC+227], acc117 // copy acc to vreg[107]
v_accvgpr_read_b32 v[vgprValuC+232], acc86 // copy acc to vreg[108]
v_accvgpr_read_b32 v[vgprValuC+233], acc118 // copy acc to vreg[109]
v_accvgpr_read_b32 v[vgprValuC+234], acc87 // copy acc to vreg[110]
v_accvgpr_read_b32 v[vgprValuC+235], acc119 // copy acc to vreg[111]
v_accvgpr_read_b32 v[vgprValuC+240], acc88 // copy acc to vreg[112]
v_accvgpr_read_b32 v[vgprValuC+241], acc120 // copy acc to vreg[113]
v_accvgpr_read_b32 v[vgprValuC+242], acc89 // copy acc to vreg[114]
v_accvgpr_read_b32 v[vgprValuC+243], acc121 // copy acc to vreg[115]
v_accvgpr_read_b32 v[vgprValuC+248], acc90 // copy acc to vreg[116]
v_accvgpr_read_b32 v[vgprValuC+249], acc122 // copy acc to vreg[117]
v_accvgpr_read_b32 v[vgprValuC+250], acc91 // copy acc to vreg[118]
v_accvgpr_read_b32 v[vgprValuC+251], acc123 // copy acc to vreg[119]
s_nop 1                                            // 2 wait states required before reading vgpr

/* rC *= alpha batchElements=[(0, 0, 0, 0), (0, 0, 0, 4), (0, 1, 0, 0), (0, 1, 0, 4), (0, 2, 0, 0), (0, 2, 0, 4), (0, 3, 0, 0), (0, 3, 0, 4), (0, 4, 0, 0), (0, 4, 0, 4), (0, 5, 0, 0), (0, 5, 0, 4), (0, 6, 0, 0), (0, 6, 0, 4), (0, 7, 0, 0), (0, 7, 0, 4), (0, 0, 1, 0), (0, 0, 1, 4), (0, 1, 1, 0), (0, 1, 1, 4), (0, 2, 1, 0), (0, 2, 1, 4), (0, 3, 1, 0), (0, 3, 1, 4), (0, 4, 1, 0), (0, 4, 1, 4), (0, 5, 1, 0), (0, 5, 1, 4), (0, 6, 1, 0), (0, 6, 1, 4)] */
v_mul_f32 v[vgprValuC+12], s[sgprAlpha], v[vgprValuC+12] // *= alpha
v_mul_f32 v[vgprValuC+13], s[sgprAlpha], v[vgprValuC+13] // *= alpha
	;; [unrolled: 1-line block ×120, first 2 shown]

/* apply mask, calc new C and issue writes */

s_waitcnt vmcnt(29)                                // wait C (interleaved) 29 = 30 - 0 + 0 - 1
_v_mac_f32 v[vgprValuC+12], v8, s[sgprBeta]        // finalSum = sum*alpha + C*beta
_v_mac_f32 v[vgprValuC+13], v9, s[sgprBeta]        // finalSum = sum*alpha + C*beta
_v_mac_f32 v[vgprValuC+14], v10, s[sgprBeta]       // finalSum = sum*alpha + C*beta
_v_mac_f32 v[vgprValuC+15], v11, s[sgprBeta]       // finalSum = sum*alpha + C*beta
_buffer_store_b128 v[12:15], v6, s[sgprSrdD:sgprSrdD+3], 0, offen, offset:0 // store D

s_waitcnt vmcnt(29)                                // wait C (interleaved) 29 = 30 - 1 + 1 - 1
_v_mac_f32 v[vgprValuC+20], v16, s[sgprBeta]       // finalSum = sum*alpha + C*beta
_v_mac_f32 v[vgprValuC+21], v17, s[sgprBeta]       // finalSum = sum*alpha + C*beta
_v_mac_f32 v[vgprValuC+22], v18, s[sgprBeta]       // finalSum = sum*alpha + C*beta
_v_mac_f32 v[vgprValuC+23], v19, s[sgprBeta]       // finalSum = sum*alpha + C*beta
_buffer_store_b128 v[20:23], v6, s[sgprSrdD:sgprSrdD+3], 0, offen, offset:16 // store D

s_waitcnt vmcnt(29)                                // wait C (interleaved) 29 = 30 - 2 + 2 - 1
_v_mac_f32 v[vgprValuC+28], v24, s[sgprBeta]       // finalSum = sum*alpha + C*beta
_v_mac_f32 v[vgprValuC+29], v25, s[sgprBeta]       // finalSum = sum*alpha + C*beta
	;; [unrolled: 7-line block ×10, first 2 shown]
_v_mac_f32 v[vgprValuC+98], v94, s[sgprBeta]       // finalSum = sum*alpha + C*beta
_v_mac_f32 v[vgprValuC+99], v95, s[sgprBeta]       // finalSum = sum*alpha + C*beta
_buffer_store_b128 v[96:99], v6, s[sgprSrdD:sgprSrdD+3], 0, offen, offset:320 // store D

s_waitcnt vmcnt(29)                                // wait C (interleaved) 29 = 30 - 11 + 11 - 1
_v_mac_f32 v[vgprValuC+104], v100, s[sgprBeta]     // finalSum = sum*alpha + C*beta
_v_mac_f32 v[vgprValuC+105], v101, s[sgprBeta]     // finalSum = sum*alpha + C*beta
_v_mac_f32 v[vgprValuC+106], v102, s[sgprBeta]     // finalSum = sum*alpha + C*beta
_v_mac_f32 v[vgprValuC+107], v103, s[sgprBeta]     // finalSum = sum*alpha + C*beta
_buffer_store_b128 v[104:107], v6, s[sgprSrdD:sgprSrdD+3], 0, offen, offset:336 // store D

s_waitcnt vmcnt(29)                                // wait C (interleaved) 29 = 30 - 12 + 12 - 1
_v_mac_f32 v[vgprValuC+112], v108, s[sgprBeta]     // finalSum = sum*alpha + C*beta
_v_mac_f32 v[vgprValuC+113], v109, s[sgprBeta]     // finalSum = sum*alpha + C*beta
_v_mac_f32 v[vgprValuC+114], v110, s[sgprBeta]     // finalSum = sum*alpha + C*beta
_v_mac_f32 v[vgprValuC+115], v111, s[sgprBeta]     // finalSum = sum*alpha + C*beta
	;; [unrolled: 7-line block ×6, first 2 shown]
s_lshl_b32  s32, s[sgprStrideD1J], 2               // incToNextRow: Scale by BPE
s_add_u32  s[sgprSrdD+0], s[sgprSrdD+0], s32       // incToNextRow: gra SRD += inc(lower)
s_addc_u32  s[sgprSrdD+1], s[sgprSrdD+1], 0        // incToNextRow: gra SRD += inc(upper)
_buffer_store_b128 v[144:147], v6, s[sgprSrdD:sgprSrdD+3], 0, offen, offset:0 // store D

s_waitcnt vmcnt(29)                                // wait C (interleaved) 29 = 30 - 17 + 17 - 1
_v_mac_f32 v[vgprValuC+152], v148, s[sgprBeta]     // finalSum = sum*alpha + C*beta
_v_mac_f32 v[vgprValuC+153], v149, s[sgprBeta]     // finalSum = sum*alpha + C*beta
_v_mac_f32 v[vgprValuC+154], v150, s[sgprBeta]     // finalSum = sum*alpha + C*beta
_v_mac_f32 v[vgprValuC+155], v151, s[sgprBeta]     // finalSum = sum*alpha + C*beta
_buffer_store_b128 v[152:155], v6, s[sgprSrdD:sgprSrdD+3], 0, offen, offset:16 // store D

s_waitcnt vmcnt(29)                                // wait C (interleaved) 29 = 30 - 18 + 18 - 1
_v_mac_f32 v[vgprValuC+160], v156, s[sgprBeta]     // finalSum = sum*alpha + C*beta
_v_mac_f32 v[vgprValuC+161], v157, s[sgprBeta]     // finalSum = sum*alpha + C*beta
_v_mac_f32 v[vgprValuC+162], v158, s[sgprBeta]     // finalSum = sum*alpha + C*beta
_v_mac_f32 v[vgprValuC+163], v159, s[sgprBeta]     // finalSum = sum*alpha + C*beta
	;; [unrolled: 7-line block ×13, first 2 shown]
_buffer_store_b128 v[248:251], v6, s[sgprSrdD:sgprSrdD+3], 0, offen, offset:400 // store D
s_nop 0                                            // 1 wait state required when next inst writes vgprs held by previous dwordx4 store inst
/* optSingleColVgpr=1 optSharedColVgpr=0 optSGPRUsage=BufferLoad_Mask optSrdIncForRow=1 */

/******************************************/
/* Global Write Alpha Beta Batch #1 (d1,d0,vc1,vc0) = */
/*    (0,7,1,0:vw4); (0,7,1,4:vw4)        */
/******************************************/

/* calc coords, apply mask, and issue loads (if necessary) */
/* (d1,vc1,d0,vc0)=(0,1,7,0) */
_buffer_load_b128 v[8:11], v7, s[sgprSrdC:sgprSrdC+3], 0, offen offset:448 // load C for beta calc
/* (d1,vc1,d0,vc0)=(0,1,7,4) */
_buffer_load_b128 v[16:19], v7, s[sgprSrdC:sgprSrdC+3], 0, offen offset:464 // load C for beta calc
v_accvgpr_read_b32 v[vgprValuC+12], acc92 // copy acc to vreg[120]
v_accvgpr_read_b32 v[vgprValuC+13], acc124 // copy acc to vreg[121]
v_accvgpr_read_b32 v[vgprValuC+14], acc93 // copy acc to vreg[122]
v_accvgpr_read_b32 v[vgprValuC+15], acc125 // copy acc to vreg[123]
v_accvgpr_read_b32 v[vgprValuC+20], acc94 // copy acc to vreg[124]
v_accvgpr_read_b32 v[vgprValuC+21], acc126 // copy acc to vreg[125]
v_accvgpr_read_b32 v[vgprValuC+22], acc95 // copy acc to vreg[126]
v_accvgpr_read_b32 v[vgprValuC+23], acc127 // copy acc to vreg[127]
s_nop 1                                            // 2 wait states required before reading vgpr

/* rC *= alpha batchElements=[(0, 7, 1, 0), (0, 7, 1, 4)] */
v_mul_f32 v[vgprValuC+12], s[sgprAlpha], v[vgprValuC+12] // *= alpha
v_mul_f32 v[vgprValuC+13], s[sgprAlpha], v[vgprValuC+13] // *= alpha
	;; [unrolled: 1-line block ×8, first 2 shown]

/* apply mask, calc new C and issue writes */

s_waitcnt vmcnt(1)                                 // wait C (interleaved) 1 = 2 - 0 + 0 - 1
_v_mac_f32 v[vgprValuC+12], v8, s[sgprBeta]        // finalSum = sum*alpha + C*beta
_v_mac_f32 v[vgprValuC+13], v9, s[sgprBeta]        // finalSum = sum*alpha + C*beta
_v_mac_f32 v[vgprValuC+14], v10, s[sgprBeta]       // finalSum = sum*alpha + C*beta
_v_mac_f32 v[vgprValuC+15], v11, s[sgprBeta]       // finalSum = sum*alpha + C*beta
_buffer_store_b128 v[12:15], v6, s[sgprSrdD:sgprSrdD+3], 0, offen, offset:448 // store D

s_waitcnt vmcnt(1)                                 // wait C (interleaved) 1 = 2 - 1 + 1 - 1
_v_mac_f32 v[vgprValuC+20], v16, s[sgprBeta]       // finalSum = sum*alpha + C*beta
_v_mac_f32 v[vgprValuC+21], v17, s[sgprBeta]       // finalSum = sum*alpha + C*beta
	;; [unrolled: 1-line block ×4, first 2 shown]
_buffer_store_b128 v[20:23], v6, s[sgprSrdD:sgprSrdD+3], 0, offen, offset:464 // store D
s_nop 0                                            // 1 wait state required when next inst writes vgprs held by previous dwordx4 store inst
s_branch label_GW_End_178                          // jump to end
GW_B1_E1_177:

/* edge=1, allocate 6 sgpr. perBatchTmpS=4 perBatchMaskS=2 perElementMaskS=0 elementsPerBatch=26 */
/* optSingleColVgpr=0 optSharedColVgpr=0 optSGPRUsage=BufferLoad_Edge_Mask optSrdIncForRow=0 */

/******************************************/
/* Global Write Alpha Beta Edge Batch #0 (d1,d0,vc1,vc0) = */
/*    (0,0,0,0:vw4); (0,0,0,4:vw4); (0,1,0,0:vw4); (0,1,0,4:vw4); (0,2,0,0:vw4); (0,2,0,4:vw4); (0,3,0,0:vw4); (0,3,0,4:vw4); (0,4,0,0:vw4); (0,4,0,4:vw4); (0,5,0,0:vw4); (0,5,0,4:vw4); (0,6,0,0:vw4); (0,6,0,4:vw4); (0,7,0,0:vw4); (0,7,0,4:vw4); (0,0,1,0:vw4); (0,0,1,4:vw4); (0,1,1,0:vw4); (0,1,1,4:vw4); (0,2,1,0:vw4); (0,2,1,4:vw4); (0,3,1,0:vw4); (0,3,1,4:vw4); (0,4,1,0:vw4); (0,4,1,4:vw4) */
/******************************************/

/* calc coords, apply mask, and issue loads (if necessary) */
/* (d1,vc1,d0,vc0)=(0,0,0,0) */
v_cmp_lt_u32 s[52:53], v0, s[sgprSizeI]            // coord0 < size0
v_cmp_lt_u32 s[56:57], v1, s[sgprSizeJ]            // coord1 < size1
s_and_b64 s[56:57], s[52:53], s[56:57]             // in0 && in1
_v_add_lshl_u32 v6, v2, v0, 0x2                    // scaleToBpe: accumulate d0 lower and *= bpe into Cin addr
v_cndmask_b32 v6, -1, v6, s[56:57]                 // LDC clip if OOB. offset
_buffer_load_b128 v[8:11], v6, s[sgprSrdC:sgprSrdC+3], 0, offen offset:0 // load C for beta calc
_v_add_lshl_u32 v6, v3, v0, 0x2                    // scaleToBpe: accumulate d0 lower and *= bpe into Cin addr
v_cndmask_b32 v6, -1, v6, s[56:57]                 // LDD clip if OOB. offset
/* (d1,vc1,d0,vc0)=(0,0,0,4) */
_v_add_co_u32 v4, vcc, v0, 4                       // coord0.1: coord0 += d0*sg0*VW + vc0
v_cmp_lt_u32 s[52:53], v4, s[sgprSizeI]            // coord0 < size0
v_cmp_lt_u32 s[56:57], v1, s[sgprSizeJ]            // coord1 < size1
s_and_b64 s[56:57], s[52:53], s[56:57]             // in0 && in1
_v_add_lshl_u32 v7, v2, v4, 0x2                    // scaleToBpe: accumulate d0 lower and *= bpe into Cin addr
v_cndmask_b32 v7, -1, v7, s[56:57]                 // LDC clip if OOB. offset
_buffer_load_b128 v[16:19], v7, s[sgprSrdC:sgprSrdC+3], 0, offen offset:0 // load C for beta calc
_v_add_lshl_u32 v7, v3, v4, 0x2                    // scaleToBpe: accumulate d0 lower and *= bpe into Cin addr
v_cndmask_b32 v7, -1, v7, s[56:57]                 // LDD clip if OOB. offset
/* (d1,vc1,d0,vc0)=(0,0,1,0) */
_v_add_co_u32 v4, vcc, v0, 16                      // coord0.1: coord0 += d0*sg0*VW + vc0
v_cmp_lt_u32 s[52:53], v4, s[sgprSizeI]            // coord0 < size0
v_cmp_lt_u32 s[56:57], v1, s[sgprSizeJ]            // coord1 < size1
s_and_b64 s[56:57], s[52:53], s[56:57]             // in0 && in1
_v_add_lshl_u32 v24, v2, v4, 0x2                   // scaleToBpe: accumulate d0 lower and *= bpe into Cin addr
v_cndmask_b32 v24, -1, v24, s[56:57]               // LDC clip if OOB. offset
_buffer_load_b128 v[28:31], v24, s[sgprSrdC:sgprSrdC+3], 0, offen offset:0 // load C for beta calc
_v_add_lshl_u32 v24, v3, v4, 0x2                   // scaleToBpe: accumulate d0 lower and *= bpe into Cin addr
v_cndmask_b32 v24, -1, v24, s[56:57]               // LDD clip if OOB. offset
/* (d1,vc1,d0,vc0)=(0,0,1,4) */
_v_add_co_u32 v4, vcc, v0, 20                      // coord0.1: coord0 += d0*sg0*VW + vc0
v_cmp_lt_u32 s[52:53], v4, s[sgprSizeI]            // coord0 < size0
v_cmp_lt_u32 s[56:57], v1, s[sgprSizeJ]            // coord1 < size1
s_and_b64 s[56:57], s[52:53], s[56:57]             // in0 && in1
_v_add_lshl_u32 v25, v2, v4, 0x2                   // scaleToBpe: accumulate d0 lower and *= bpe into Cin addr
v_cndmask_b32 v25, -1, v25, s[56:57]               // LDC clip if OOB. offset
_buffer_load_b128 v[36:39], v25, s[sgprSrdC:sgprSrdC+3], 0, offen offset:0 // load C for beta calc
_v_add_lshl_u32 v25, v3, v4, 0x2                   // scaleToBpe: accumulate d0 lower and *= bpe into Cin addr
v_cndmask_b32 v25, -1, v25, s[56:57]               // LDD clip if OOB. offset
	;; [unrolled: 10-line block ×7, first 2 shown]
/* (d1,vc1,d0,vc0)=(0,0,4,4) */
s_mov_b32 s52, 68                                  // coordOffset0 d0=4 vc0=4
_v_add_co_u32 v4, vcc, v0, s52                     // coord0.2: coord0 += d0*sg0*VW + vc0
v_cmp_lt_u32 s[52:53], v4, s[sgprSizeI]            // coord0 < size0
v_cmp_lt_u32 s[56:57], v1, s[sgprSizeJ]            // coord1 < size1
s_and_b64 s[56:57], s[52:53], s[56:57]             // in0 && in1
_v_add_lshl_u32 v74, v2, v4, 0x2                   // scaleToBpe: accumulate d0 lower and *= bpe into Cin addr
v_cndmask_b32 v74, -1, v74, s[56:57]               // LDC clip if OOB. offset
_buffer_load_b128 v[92:95], v74, s[sgprSrdC:sgprSrdC+3], 0, offen offset:0 // load C for beta calc
_v_add_lshl_u32 v74, v3, v4, 0x2                   // scaleToBpe: accumulate d0 lower and *= bpe into Cin addr
v_cndmask_b32 v74, -1, v74, s[56:57]               // LDD clip if OOB. offset
/* (d1,vc1,d0,vc0)=(0,0,5,0) */
s_mov_b32 s52, 80                                  // coordOffset0 d0=5 vc0=0
_v_add_co_u32 v4, vcc, v0, s52                     // coord0.2: coord0 += d0*sg0*VW + vc0
v_cmp_lt_u32 s[52:53], v4, s[sgprSizeI]            // coord0 < size0
v_cmp_lt_u32 s[56:57], v1, s[sgprSizeJ]            // coord1 < size1
s_and_b64 s[56:57], s[52:53], s[56:57]             // in0 && in1
_v_add_lshl_u32 v75, v2, v4, 0x2                   // scaleToBpe: accumulate d0 lower and *= bpe into Cin addr
v_cndmask_b32 v75, -1, v75, s[56:57]               // LDC clip if OOB. offset
_buffer_load_b128 v[100:103], v75, s[sgprSrdC:sgprSrdC+3], 0, offen offset:0 // load C for beta calc
_v_add_lshl_u32 v75, v3, v4, 0x2                   // scaleToBpe: accumulate d0 lower and *= bpe into Cin addr
v_cndmask_b32 v75, -1, v75, s[56:57]               // LDD clip if OOB. offset
/* (d1,vc1,d0,vc0)=(0,0,5,4) */
s_mov_b32 s52, 84                                  // coordOffset0 d0=5 vc0=4
_v_add_co_u32 v4, vcc, v0, s52                     // coord0.2: coord0 += d0*sg0*VW + vc0
v_cmp_lt_u32 s[52:53], v4, s[sgprSizeI]            // coord0 < size0
v_cmp_lt_u32 s[56:57], v1, s[sgprSizeJ]            // coord1 < size1
s_and_b64 s[56:57], s[52:53], s[56:57]             // in0 && in1
_v_add_lshl_u32 v108, v2, v4, 0x2                  // scaleToBpe: accumulate d0 lower and *= bpe into Cin addr
v_cndmask_b32 v108, -1, v108, s[56:57]             // LDC clip if OOB. offset
_buffer_load_b128 v[112:115], v108, s[sgprSrdC:sgprSrdC+3], 0, offen offset:0 // load C for beta calc
_v_add_lshl_u32 v108, v3, v4, 0x2                  // scaleToBpe: accumulate d0 lower and *= bpe into Cin addr
v_cndmask_b32 v108, -1, v108, s[56:57]             // LDD clip if OOB. offset
/* (d1,vc1,d0,vc0)=(0,0,6,0) */
s_mov_b32 s52, 96                                  // coordOffset0 d0=6 vc0=0
_v_add_co_u32 v4, vcc, v0, s52                     // coord0.2: coord0 += d0*sg0*VW + vc0
v_cmp_lt_u32 s[52:53], v4, s[sgprSizeI]            // coord0 < size0
v_cmp_lt_u32 s[56:57], v1, s[sgprSizeJ]            // coord1 < size1
s_and_b64 s[56:57], s[52:53], s[56:57]             // in0 && in1
_v_add_lshl_u32 v109, v2, v4, 0x2                  // scaleToBpe: accumulate d0 lower and *= bpe into Cin addr
v_cndmask_b32 v109, -1, v109, s[56:57]             // LDC clip if OOB. offset
_buffer_load_b128 v[120:123], v109, s[sgprSrdC:sgprSrdC+3], 0, offen offset:0 // load C for beta calc
_v_add_lshl_u32 v109, v3, v4, 0x2                  // scaleToBpe: accumulate d0 lower and *= bpe into Cin addr
v_cndmask_b32 v109, -1, v109, s[56:57]             // LDD clip if OOB. offset
/* (d1,vc1,d0,vc0)=(0,0,6,4) */
s_mov_b32 s52, 100                                 // coordOffset0 d0=6 vc0=4
_v_add_co_u32 v4, vcc, v0, s52                     // coord0.2: coord0 += d0*sg0*VW + vc0
v_cmp_lt_u32 s[52:53], v4, s[sgprSizeI]            // coord0 < size0
v_cmp_lt_u32 s[56:57], v1, s[sgprSizeJ]            // coord1 < size1
s_and_b64 s[56:57], s[52:53], s[56:57]             // in0 && in1
_v_add_lshl_u32 v110, v2, v4, 0x2                  // scaleToBpe: accumulate d0 lower and *= bpe into Cin addr
v_cndmask_b32 v110, -1, v110, s[56:57]             // LDC clip if OOB. offset
_buffer_load_b128 v[128:131], v110, s[sgprSrdC:sgprSrdC+3], 0, offen offset:0 // load C for beta calc
_v_add_lshl_u32 v110, v3, v4, 0x2                  // scaleToBpe: accumulate d0 lower and *= bpe into Cin addr
v_cndmask_b32 v110, -1, v110, s[56:57]             // LDD clip if OOB. offset
/* (d1,vc1,d0,vc0)=(0,0,7,0) */
s_mov_b32 s52, 112                                 // coordOffset0 d0=7 vc0=0
	;; [unrolled: 11-line block ×3, first 2 shown]
_v_add_co_u32 v4, vcc, v0, s52                     // coord0.2: coord0 += d0*sg0*VW + vc0
v_cmp_lt_u32 s[52:53], v4, s[sgprSizeI]            // coord0 < size0
v_cmp_lt_u32 s[56:57], v1, s[sgprSizeJ]            // coord1 < size1
s_and_b64 s[56:57], s[52:53], s[56:57]             // in0 && in1
_v_add_lshl_u32 v144, v2, v4, 0x2                  // scaleToBpe: accumulate d0 lower and *= bpe into Cin addr
v_cndmask_b32 v144, -1, v144, s[56:57]             // LDC clip if OOB. offset
_buffer_load_b128 v[148:151], v144, s[sgprSrdC:sgprSrdC+3], 0, offen offset:0 // load C for beta calc
_v_add_lshl_u32 v144, v3, v4, 0x2                  // scaleToBpe: accumulate d0 lower and *= bpe into Cin addr
v_cndmask_b32 v144, -1, v144, s[56:57]             // LDD clip if OOB. offset
/* (d1,vc1,d0,vc0)=(0,1,0,0) */
_v_add_co_u32 v1, vcc, v1, 1                       // coord1.1: coord1Vgpr += d1*sg1*VW + vc1

/* Fix for UseInitialStridesCD, emitAddressSetupCode */
_v_add_u32 v2, v2, s[sgprStrideC1J]                // ROWINC- Move cinRowPtr to next row
_v_add_u32 v3, v3, s[sgprStrideD1J]                // Move coutRowPtr to next row
v_cmp_lt_u32 s[52:53], v0, s[sgprSizeI]            // coord0 < size0
v_cmp_lt_u32 s[56:57], v1, s[sgprSizeJ]            // coord1 < size1
s_and_b64 s[56:57], s[52:53], s[56:57]             // in0 && in1
_v_add_lshl_u32 v145, v2, v0, 0x2                  // scaleToBpe: accumulate d0 lower and *= bpe into Cin addr
v_cndmask_b32 v145, -1, v145, s[56:57]             // LDC clip if OOB. offset
_buffer_load_b128 v[156:159], v145, s[sgprSrdC:sgprSrdC+3], 0, offen offset:0 // load C for beta calc
_v_add_lshl_u32 v145, v3, v0, 0x2                  // scaleToBpe: accumulate d0 lower and *= bpe into Cin addr
v_cndmask_b32 v145, -1, v145, s[56:57]             // LDD clip if OOB. offset
/* (d1,vc1,d0,vc0)=(0,1,0,4) */
_v_add_co_u32 v4, vcc, v0, 4                       // coord0.1: coord0 += d0*sg0*VW + vc0
v_cmp_lt_u32 s[52:53], v4, s[sgprSizeI]            // coord0 < size0
v_cmp_lt_u32 s[56:57], v1, s[sgprSizeJ]            // coord1 < size1
s_and_b64 s[56:57], s[52:53], s[56:57]             // in0 && in1
_v_add_lshl_u32 v146, v2, v4, 0x2                  // scaleToBpe: accumulate d0 lower and *= bpe into Cin addr
v_cndmask_b32 v146, -1, v146, s[56:57]             // LDC clip if OOB. offset
_buffer_load_b128 v[164:167], v146, s[sgprSrdC:sgprSrdC+3], 0, offen offset:0 // load C for beta calc
_v_add_lshl_u32 v146, v3, v4, 0x2                  // scaleToBpe: accumulate d0 lower and *= bpe into Cin addr
v_cndmask_b32 v146, -1, v146, s[56:57]             // LDD clip if OOB. offset
/* (d1,vc1,d0,vc0)=(0,1,1,0) */
_v_add_co_u32 v4, vcc, v0, 16                      // coord0.1: coord0 += d0*sg0*VW + vc0
v_cmp_lt_u32 s[52:53], v4, s[sgprSizeI]            // coord0 < size0
v_cmp_lt_u32 s[56:57], v1, s[sgprSizeJ]            // coord1 < size1
s_and_b64 s[56:57], s[52:53], s[56:57]             // in0 && in1
_v_add_lshl_u32 v147, v2, v4, 0x2                  // scaleToBpe: accumulate d0 lower and *= bpe into Cin addr
v_cndmask_b32 v147, -1, v147, s[56:57]             // LDC clip if OOB. offset
_buffer_load_b128 v[172:175], v147, s[sgprSrdC:sgprSrdC+3], 0, offen offset:0 // load C for beta calc
_v_add_lshl_u32 v147, v3, v4, 0x2                  // scaleToBpe: accumulate d0 lower and *= bpe into Cin addr
v_cndmask_b32 v147, -1, v147, s[56:57]             // LDD clip if OOB. offset
/* (d1,vc1,d0,vc0)=(0,1,1,4) */
_v_add_co_u32 v4, vcc, v0, 20                      // coord0.1: coord0 += d0*sg0*VW + vc0
	;; [unrolled: 10-line block ×7, first 2 shown]
v_cmp_lt_u32 s[52:53], v4, s[sgprSizeI]            // coord0 < size0
v_cmp_lt_u32 s[56:57], v1, s[sgprSizeJ]            // coord1 < size1
s_and_b64 s[56:57], s[52:53], s[56:57]             // in0 && in1
_v_add_lshl_u32 v217, v2, v4, 0x2                  // scaleToBpe: accumulate d0 lower and *= bpe into Cin addr
v_cndmask_b32 v217, -1, v217, s[56:57]             // LDC clip if OOB. offset
_buffer_load_b128 v[228:231], v217, s[sgprSrdC:sgprSrdC+3], 0, offen offset:0 // load C for beta calc
_v_add_lshl_u32 v217, v3, v4, 0x2                  // scaleToBpe: accumulate d0 lower and *= bpe into Cin addr
v_cndmask_b32 v217, -1, v217, s[56:57]             // LDD clip if OOB. offset
/* (d1,vc1,d0,vc0)=(0,1,4,4) */
s_mov_b32 s52, 68                                  // coordOffset0 d0=4 vc0=4
_v_add_co_u32 v4, vcc, v0, s52                     // coord0.2: coord0 += d0*sg0*VW + vc0
v_cmp_lt_u32 s[52:53], v4, s[sgprSizeI]            // coord0 < size0
v_cmp_lt_u32 s[56:57], v1, s[sgprSizeJ]            // coord1 < size1
s_and_b64 s[56:57], s[52:53], s[56:57]             // in0 && in1
_v_add_lshl_u32 v218, v2, v4, 0x2                  // scaleToBpe: accumulate d0 lower and *= bpe into Cin addr
v_cndmask_b32 v218, -1, v218, s[56:57]             // LDC clip if OOB. offset
_buffer_load_b128 v[236:239], v218, s[sgprSrdC:sgprSrdC+3], 0, offen offset:0 // load C for beta calc
_v_add_lshl_u32 v218, v3, v4, 0x2                  // scaleToBpe: accumulate d0 lower and *= bpe into Cin addr
v_cndmask_b32 v218, -1, v218, s[56:57]             // LDD clip if OOB. offset
v_accvgpr_read_b32 v[vgprValuC+12], acc0 // copy acc to vreg[0]
v_accvgpr_read_b32 v[vgprValuC+13], acc32 // copy acc to vreg[1]
v_accvgpr_read_b32 v[vgprValuC+14], acc1 // copy acc to vreg[2]
v_accvgpr_read_b32 v[vgprValuC+15], acc33 // copy acc to vreg[3]
v_accvgpr_read_b32 v[vgprValuC+20], acc2 // copy acc to vreg[4]
v_accvgpr_read_b32 v[vgprValuC+21], acc34 // copy acc to vreg[5]
v_accvgpr_read_b32 v[vgprValuC+22], acc3 // copy acc to vreg[6]
v_accvgpr_read_b32 v[vgprValuC+23], acc35 // copy acc to vreg[7]
v_accvgpr_read_b32 v[vgprValuC+32], acc4 // copy acc to vreg[8]
v_accvgpr_read_b32 v[vgprValuC+33], acc36 // copy acc to vreg[9]
v_accvgpr_read_b32 v[vgprValuC+34], acc5 // copy acc to vreg[10]
v_accvgpr_read_b32 v[vgprValuC+35], acc37 // copy acc to vreg[11]
v_accvgpr_read_b32 v[vgprValuC+40], acc6 // copy acc to vreg[12]
v_accvgpr_read_b32 v[vgprValuC+41], acc38 // copy acc to vreg[13]
v_accvgpr_read_b32 v[vgprValuC+42], acc7 // copy acc to vreg[14]
v_accvgpr_read_b32 v[vgprValuC+43], acc39 // copy acc to vreg[15]
v_accvgpr_read_b32 v[vgprValuC+52], acc8 // copy acc to vreg[16]
v_accvgpr_read_b32 v[vgprValuC+53], acc40 // copy acc to vreg[17]
v_accvgpr_read_b32 v[vgprValuC+54], acc9 // copy acc to vreg[18]
v_accvgpr_read_b32 v[vgprValuC+55], acc41 // copy acc to vreg[19]
v_accvgpr_read_b32 v[vgprValuC+60], acc10 // copy acc to vreg[20]
v_accvgpr_read_b32 v[vgprValuC+61], acc42 // copy acc to vreg[21]
v_accvgpr_read_b32 v[vgprValuC+62], acc11 // copy acc to vreg[22]
v_accvgpr_read_b32 v[vgprValuC+63], acc43 // copy acc to vreg[23]
v_accvgpr_read_b32 v[vgprValuC+68], acc12 // copy acc to vreg[24]
v_accvgpr_read_b32 v[vgprValuC+69], acc44 // copy acc to vreg[25]
v_accvgpr_read_b32 v[vgprValuC+70], acc13 // copy acc to vreg[26]
v_accvgpr_read_b32 v[vgprValuC+71], acc45 // copy acc to vreg[27]
v_accvgpr_read_b32 v[vgprValuC+80], acc14 // copy acc to vreg[28]
v_accvgpr_read_b32 v[vgprValuC+81], acc46 // copy acc to vreg[29]
v_accvgpr_read_b32 v[vgprValuC+82], acc15 // copy acc to vreg[30]
v_accvgpr_read_b32 v[vgprValuC+83], acc47 // copy acc to vreg[31]
v_accvgpr_read_b32 v[vgprValuC+88], acc16 // copy acc to vreg[32]
v_accvgpr_read_b32 v[vgprValuC+89], acc48 // copy acc to vreg[33]
v_accvgpr_read_b32 v[vgprValuC+90], acc17 // copy acc to vreg[34]
v_accvgpr_read_b32 v[vgprValuC+91], acc49 // copy acc to vreg[35]
v_accvgpr_read_b32 v[vgprValuC+96], acc18 // copy acc to vreg[36]
v_accvgpr_read_b32 v[vgprValuC+97], acc50 // copy acc to vreg[37]
v_accvgpr_read_b32 v[vgprValuC+98], acc19 // copy acc to vreg[38]
v_accvgpr_read_b32 v[vgprValuC+99], acc51 // copy acc to vreg[39]
v_accvgpr_read_b32 v[vgprValuC+104], acc20 // copy acc to vreg[40]
v_accvgpr_read_b32 v[vgprValuC+105], acc52 // copy acc to vreg[41]
v_accvgpr_read_b32 v[vgprValuC+106], acc21 // copy acc to vreg[42]
v_accvgpr_read_b32 v[vgprValuC+107], acc53 // copy acc to vreg[43]
v_accvgpr_read_b32 v[vgprValuC+116], acc22 // copy acc to vreg[44]
v_accvgpr_read_b32 v[vgprValuC+117], acc54 // copy acc to vreg[45]
v_accvgpr_read_b32 v[vgprValuC+118], acc23 // copy acc to vreg[46]
v_accvgpr_read_b32 v[vgprValuC+119], acc55 // copy acc to vreg[47]
v_accvgpr_read_b32 v[vgprValuC+124], acc24 // copy acc to vreg[48]
v_accvgpr_read_b32 v[vgprValuC+125], acc56 // copy acc to vreg[49]
v_accvgpr_read_b32 v[vgprValuC+126], acc25 // copy acc to vreg[50]
v_accvgpr_read_b32 v[vgprValuC+127], acc57 // copy acc to vreg[51]
v_accvgpr_read_b32 v[vgprValuC+132], acc26 // copy acc to vreg[52]
v_accvgpr_read_b32 v[vgprValuC+133], acc58 // copy acc to vreg[53]
v_accvgpr_read_b32 v[vgprValuC+134], acc27 // copy acc to vreg[54]
v_accvgpr_read_b32 v[vgprValuC+135], acc59 // copy acc to vreg[55]
v_accvgpr_read_b32 v[vgprValuC+140], acc28 // copy acc to vreg[56]
v_accvgpr_read_b32 v[vgprValuC+141], acc60 // copy acc to vreg[57]
v_accvgpr_read_b32 v[vgprValuC+142], acc29 // copy acc to vreg[58]
v_accvgpr_read_b32 v[vgprValuC+143], acc61 // copy acc to vreg[59]
v_accvgpr_read_b32 v[vgprValuC+152], acc30 // copy acc to vreg[60]
v_accvgpr_read_b32 v[vgprValuC+153], acc62 // copy acc to vreg[61]
v_accvgpr_read_b32 v[vgprValuC+154], acc31 // copy acc to vreg[62]
v_accvgpr_read_b32 v[vgprValuC+155], acc63 // copy acc to vreg[63]
v_accvgpr_read_b32 v[vgprValuC+160], acc64 // copy acc to vreg[64]
v_accvgpr_read_b32 v[vgprValuC+161], acc96 // copy acc to vreg[65]
v_accvgpr_read_b32 v[vgprValuC+162], acc65 // copy acc to vreg[66]
v_accvgpr_read_b32 v[vgprValuC+163], acc97 // copy acc to vreg[67]
v_accvgpr_read_b32 v[vgprValuC+168], acc66 // copy acc to vreg[68]
v_accvgpr_read_b32 v[vgprValuC+169], acc98 // copy acc to vreg[69]
v_accvgpr_read_b32 v[vgprValuC+170], acc67 // copy acc to vreg[70]
v_accvgpr_read_b32 v[vgprValuC+171], acc99 // copy acc to vreg[71]
v_accvgpr_read_b32 v[vgprValuC+176], acc68 // copy acc to vreg[72]
v_accvgpr_read_b32 v[vgprValuC+177], acc100 // copy acc to vreg[73]
v_accvgpr_read_b32 v[vgprValuC+178], acc69 // copy acc to vreg[74]
v_accvgpr_read_b32 v[vgprValuC+179], acc101 // copy acc to vreg[75]
v_accvgpr_read_b32 v[vgprValuC+188], acc70 // copy acc to vreg[76]
v_accvgpr_read_b32 v[vgprValuC+189], acc102 // copy acc to vreg[77]
v_accvgpr_read_b32 v[vgprValuC+190], acc71 // copy acc to vreg[78]
v_accvgpr_read_b32 v[vgprValuC+191], acc103 // copy acc to vreg[79]
v_accvgpr_read_b32 v[vgprValuC+196], acc72 // copy acc to vreg[80]
v_accvgpr_read_b32 v[vgprValuC+197], acc104 // copy acc to vreg[81]
v_accvgpr_read_b32 v[vgprValuC+198], acc73 // copy acc to vreg[82]
v_accvgpr_read_b32 v[vgprValuC+199], acc105 // copy acc to vreg[83]
v_accvgpr_read_b32 v[vgprValuC+204], acc74 // copy acc to vreg[84]
v_accvgpr_read_b32 v[vgprValuC+205], acc106 // copy acc to vreg[85]
v_accvgpr_read_b32 v[vgprValuC+206], acc75 // copy acc to vreg[86]
v_accvgpr_read_b32 v[vgprValuC+207], acc107 // copy acc to vreg[87]
v_accvgpr_read_b32 v[vgprValuC+212], acc76 // copy acc to vreg[88]
v_accvgpr_read_b32 v[vgprValuC+213], acc108 // copy acc to vreg[89]
v_accvgpr_read_b32 v[vgprValuC+214], acc77 // copy acc to vreg[90]
v_accvgpr_read_b32 v[vgprValuC+215], acc109 // copy acc to vreg[91]
v_accvgpr_read_b32 v[vgprValuC+224], acc78 // copy acc to vreg[92]
v_accvgpr_read_b32 v[vgprValuC+225], acc110 // copy acc to vreg[93]
v_accvgpr_read_b32 v[vgprValuC+226], acc79 // copy acc to vreg[94]
v_accvgpr_read_b32 v[vgprValuC+227], acc111 // copy acc to vreg[95]
v_accvgpr_read_b32 v[vgprValuC+232], acc80 // copy acc to vreg[96]
v_accvgpr_read_b32 v[vgprValuC+233], acc112 // copy acc to vreg[97]
v_accvgpr_read_b32 v[vgprValuC+234], acc81 // copy acc to vreg[98]
v_accvgpr_read_b32 v[vgprValuC+235], acc113 // copy acc to vreg[99]
v_accvgpr_read_b32 v[vgprValuC+240], acc82 // copy acc to vreg[100]
v_accvgpr_read_b32 v[vgprValuC+241], acc114 // copy acc to vreg[101]
v_accvgpr_read_b32 v[vgprValuC+242], acc83 // copy acc to vreg[102]
v_accvgpr_read_b32 v[vgprValuC+243], acc115 // copy acc to vreg[103]
s_nop 1                                            // 2 wait states required before reading vgpr

/* rC *= alpha batchElements=[(0, 0, 0, 0), (0, 0, 0, 4), (0, 1, 0, 0), (0, 1, 0, 4), (0, 2, 0, 0), (0, 2, 0, 4), (0, 3, 0, 0), (0, 3, 0, 4), (0, 4, 0, 0), (0, 4, 0, 4), (0, 5, 0, 0), (0, 5, 0, 4), (0, 6, 0, 0), (0, 6, 0, 4), (0, 7, 0, 0), (0, 7, 0, 4), (0, 0, 1, 0), (0, 0, 1, 4), (0, 1, 1, 0), (0, 1, 1, 4), (0, 2, 1, 0), (0, 2, 1, 4), (0, 3, 1, 0), (0, 3, 1, 4), (0, 4, 1, 0), (0, 4, 1, 4)] */
v_mul_f32 v[vgprValuC+12], s[sgprAlpha], v[vgprValuC+12] // *= alpha
v_mul_f32 v[vgprValuC+13], s[sgprAlpha], v[vgprValuC+13] // *= alpha
	;; [unrolled: 1-line block ×104, first 2 shown]
s_waitcnt vmcnt(0)                                 // wait C

/* apply mask, calc new C and issue writes */
_v_mac_f32 v[vgprValuC+12], v8, s[sgprBeta]        // finalSum = sum*alpha + C*beta
_v_mac_f32 v[vgprValuC+13], v9, s[sgprBeta]        // finalSum = sum*alpha + C*beta
_v_mac_f32 v[vgprValuC+14], v10, s[sgprBeta]       // finalSum = sum*alpha + C*beta
_v_mac_f32 v[vgprValuC+15], v11, s[sgprBeta]       // finalSum = sum*alpha + C*beta
_buffer_store_b128 v[12:15], v6, s[sgprSrdD:sgprSrdD+3], 0, offen, offset:0 // store D
_v_mac_f32 v[vgprValuC+20], v16, s[sgprBeta]       // finalSum = sum*alpha + C*beta
_v_mac_f32 v[vgprValuC+21], v17, s[sgprBeta]       // finalSum = sum*alpha + C*beta
_v_mac_f32 v[vgprValuC+22], v18, s[sgprBeta]       // finalSum = sum*alpha + C*beta
_v_mac_f32 v[vgprValuC+23], v19, s[sgprBeta]       // finalSum = sum*alpha + C*beta
_buffer_store_b128 v[20:23], v7, s[sgprSrdD:sgprSrdD+3], 0, offen, offset:0 // store D
_v_mac_f32 v[vgprValuC+32], v28, s[sgprBeta]       // finalSum = sum*alpha + C*beta
_v_mac_f32 v[vgprValuC+33], v29, s[sgprBeta]       // finalSum = sum*alpha + C*beta
	;; [unrolled: 5-line block ×9, first 2 shown]
_v_mac_f32 v[vgprValuC+98], v94, s[sgprBeta]       // finalSum = sum*alpha + C*beta
_v_mac_f32 v[vgprValuC+99], v95, s[sgprBeta]       // finalSum = sum*alpha + C*beta
_buffer_store_b128 v[96:99], v74, s[sgprSrdD:sgprSrdD+3], 0, offen, offset:0 // store D
_v_mac_f32 v[vgprValuC+104], v100, s[sgprBeta]     // finalSum = sum*alpha + C*beta
_v_mac_f32 v[vgprValuC+105], v101, s[sgprBeta]     // finalSum = sum*alpha + C*beta
_v_mac_f32 v[vgprValuC+106], v102, s[sgprBeta]     // finalSum = sum*alpha + C*beta
_v_mac_f32 v[vgprValuC+107], v103, s[sgprBeta]     // finalSum = sum*alpha + C*beta
_buffer_store_b128 v[104:107], v75, s[sgprSrdD:sgprSrdD+3], 0, offen, offset:0 // store D
_v_mac_f32 v[vgprValuC+116], v112, s[sgprBeta]     // finalSum = sum*alpha + C*beta
_v_mac_f32 v[vgprValuC+117], v113, s[sgprBeta]     // finalSum = sum*alpha + C*beta
_v_mac_f32 v[vgprValuC+118], v114, s[sgprBeta]     // finalSum = sum*alpha + C*beta
_v_mac_f32 v[vgprValuC+119], v115, s[sgprBeta]     // finalSum = sum*alpha + C*beta
	;; [unrolled: 5-line block ×16, first 2 shown]
_buffer_store_b128 v[240:243], v218, s[sgprSrdD:sgprSrdD+3], 0, offen, offset:0 // store D
s_nop 0                                            // 1 wait state required when next inst writes vgprs held by previous dwordx4 store inst
/* optSingleColVgpr=0 optSharedColVgpr=0 optSGPRUsage=BufferLoad_Edge_Mask optSrdIncForRow=0 */

/******************************************/
/* Global Write Alpha Beta Edge Batch #1 (d1,d0,vc1,vc0) = */
/*    (0,5,1,0:vw4); (0,5,1,4:vw4); (0,6,1,0:vw4); (0,6,1,4:vw4); (0,7,1,0:vw4); (0,7,1,4:vw4) */
/******************************************/

/* calc coords, apply mask, and issue loads (if necessary) */
/* (d1,vc1,d0,vc0)=(0,1,5,0) */
s_mov_b32 s52, 80                                  // coordOffset0 d0=5 vc0=0
_v_add_co_u32 v4, vcc, v0, s52                     // coord0.2: coord0 += d0*sg0*VW + vc0
v_cmp_lt_u32 s[52:53], v4, s[sgprSizeI]            // coord0 < size0
v_cmp_lt_u32 s[56:57], v1, s[sgprSizeJ]            // coord1 < size1
s_and_b64 s[56:57], s[52:53], s[56:57]             // in0 && in1
_v_add_lshl_u32 v6, v2, v4, 0x2                    // scaleToBpe: accumulate d0 lower and *= bpe into Cin addr
v_cndmask_b32 v6, -1, v6, s[56:57]                 // LDC clip if OOB. offset
_buffer_load_b128 v[8:11], v6, s[sgprSrdC:sgprSrdC+3], 0, offen offset:0 // load C for beta calc
_v_add_lshl_u32 v6, v3, v4, 0x2                    // scaleToBpe: accumulate d0 lower and *= bpe into Cin addr
v_cndmask_b32 v6, -1, v6, s[56:57]                 // LDD clip if OOB. offset
/* (d1,vc1,d0,vc0)=(0,1,5,4) */
s_mov_b32 s52, 84                                  // coordOffset0 d0=5 vc0=4
_v_add_co_u32 v4, vcc, v0, s52                     // coord0.2: coord0 += d0*sg0*VW + vc0
v_cmp_lt_u32 s[52:53], v4, s[sgprSizeI]            // coord0 < size0
v_cmp_lt_u32 s[56:57], v1, s[sgprSizeJ]            // coord1 < size1
s_and_b64 s[56:57], s[52:53], s[56:57]             // in0 && in1
_v_add_lshl_u32 v7, v2, v4, 0x2                    // scaleToBpe: accumulate d0 lower and *= bpe into Cin addr
v_cndmask_b32 v7, -1, v7, s[56:57]                 // LDC clip if OOB. offset
_buffer_load_b128 v[16:19], v7, s[sgprSrdC:sgprSrdC+3], 0, offen offset:0 // load C for beta calc
_v_add_lshl_u32 v7, v3, v4, 0x2                    // scaleToBpe: accumulate d0 lower and *= bpe into Cin addr
v_cndmask_b32 v7, -1, v7, s[56:57]                 // LDD clip if OOB. offset
/* (d1,vc1,d0,vc0)=(0,1,6,0) */
s_mov_b32 s52, 96                                  // coordOffset0 d0=6 vc0=0
_v_add_co_u32 v4, vcc, v0, s52                     // coord0.2: coord0 += d0*sg0*VW + vc0
v_cmp_lt_u32 s[52:53], v4, s[sgprSizeI]            // coord0 < size0
v_cmp_lt_u32 s[56:57], v1, s[sgprSizeJ]            // coord1 < size1
s_and_b64 s[56:57], s[52:53], s[56:57]             // in0 && in1
_v_add_lshl_u32 v24, v2, v4, 0x2                   // scaleToBpe: accumulate d0 lower and *= bpe into Cin addr
v_cndmask_b32 v24, -1, v24, s[56:57]               // LDC clip if OOB. offset
_buffer_load_b128 v[28:31], v24, s[sgprSrdC:sgprSrdC+3], 0, offen offset:0 // load C for beta calc
_v_add_lshl_u32 v24, v3, v4, 0x2                   // scaleToBpe: accumulate d0 lower and *= bpe into Cin addr
v_cndmask_b32 v24, -1, v24, s[56:57]               // LDD clip if OOB. offset
/* (d1,vc1,d0,vc0)=(0,1,6,4) */
s_mov_b32 s52, 100                                 // coordOffset0 d0=6 vc0=4
_v_add_co_u32 v4, vcc, v0, s52                     // coord0.2: coord0 += d0*sg0*VW + vc0
v_cmp_lt_u32 s[52:53], v4, s[sgprSizeI]            // coord0 < size0
v_cmp_lt_u32 s[56:57], v1, s[sgprSizeJ]            // coord1 < size1
s_and_b64 s[56:57], s[52:53], s[56:57]             // in0 && in1
_v_add_lshl_u32 v25, v2, v4, 0x2                   // scaleToBpe: accumulate d0 lower and *= bpe into Cin addr
v_cndmask_b32 v25, -1, v25, s[56:57]               // LDC clip if OOB. offset
_buffer_load_b128 v[36:39], v25, s[sgprSrdC:sgprSrdC+3], 0, offen offset:0 // load C for beta calc
_v_add_lshl_u32 v25, v3, v4, 0x2                   // scaleToBpe: accumulate d0 lower and *= bpe into Cin addr
v_cndmask_b32 v25, -1, v25, s[56:57]               // LDD clip if OOB. offset
/* (d1,vc1,d0,vc0)=(0,1,7,0) */
s_mov_b32 s52, 112                                 // coordOffset0 d0=7 vc0=0
	;; [unrolled: 11-line block ×3, first 2 shown]
_v_add_co_u32 v4, vcc, v0, s52                     // coord0.2: coord0 += d0*sg0*VW + vc0
v_cmp_lt_u32 s[52:53], v4, s[sgprSizeI]            // coord0 < size0
v_cmp_lt_u32 s[56:57], v1, s[sgprSizeJ]            // coord1 < size1
s_and_b64 s[56:57], s[52:53], s[56:57]             // in0 && in1
_v_add_lshl_u32 v27, v2, v4, 0x2                   // scaleToBpe: accumulate d0 lower and *= bpe into Cin addr
v_cndmask_b32 v27, -1, v27, s[56:57]               // LDC clip if OOB. offset
_buffer_load_b128 v[56:59], v27, s[sgprSrdC:sgprSrdC+3], 0, offen offset:0 // load C for beta calc
_v_add_lshl_u32 v27, v3, v4, 0x2                   // scaleToBpe: accumulate d0 lower and *= bpe into Cin addr
v_cndmask_b32 v27, -1, v27, s[56:57]               // LDD clip if OOB. offset
v_accvgpr_read_b32 v[vgprValuC+12], acc84 // copy acc to vreg[104]
v_accvgpr_read_b32 v[vgprValuC+13], acc116 // copy acc to vreg[105]
v_accvgpr_read_b32 v[vgprValuC+14], acc85 // copy acc to vreg[106]
v_accvgpr_read_b32 v[vgprValuC+15], acc117 // copy acc to vreg[107]
v_accvgpr_read_b32 v[vgprValuC+20], acc86 // copy acc to vreg[108]
v_accvgpr_read_b32 v[vgprValuC+21], acc118 // copy acc to vreg[109]
v_accvgpr_read_b32 v[vgprValuC+22], acc87 // copy acc to vreg[110]
v_accvgpr_read_b32 v[vgprValuC+23], acc119 // copy acc to vreg[111]
v_accvgpr_read_b32 v[vgprValuC+32], acc88 // copy acc to vreg[112]
v_accvgpr_read_b32 v[vgprValuC+33], acc120 // copy acc to vreg[113]
v_accvgpr_read_b32 v[vgprValuC+34], acc89 // copy acc to vreg[114]
v_accvgpr_read_b32 v[vgprValuC+35], acc121 // copy acc to vreg[115]
v_accvgpr_read_b32 v[vgprValuC+40], acc90 // copy acc to vreg[116]
v_accvgpr_read_b32 v[vgprValuC+41], acc122 // copy acc to vreg[117]
v_accvgpr_read_b32 v[vgprValuC+42], acc91 // copy acc to vreg[118]
v_accvgpr_read_b32 v[vgprValuC+43], acc123 // copy acc to vreg[119]
v_accvgpr_read_b32 v[vgprValuC+52], acc92 // copy acc to vreg[120]
v_accvgpr_read_b32 v[vgprValuC+53], acc124 // copy acc to vreg[121]
v_accvgpr_read_b32 v[vgprValuC+54], acc93 // copy acc to vreg[122]
v_accvgpr_read_b32 v[vgprValuC+55], acc125 // copy acc to vreg[123]
v_accvgpr_read_b32 v[vgprValuC+60], acc94 // copy acc to vreg[124]
v_accvgpr_read_b32 v[vgprValuC+61], acc126 // copy acc to vreg[125]
v_accvgpr_read_b32 v[vgprValuC+62], acc95 // copy acc to vreg[126]
v_accvgpr_read_b32 v[vgprValuC+63], acc127 // copy acc to vreg[127]
s_nop 1                                            // 2 wait states required before reading vgpr

/* rC *= alpha batchElements=[(0, 5, 1, 0), (0, 5, 1, 4), (0, 6, 1, 0), (0, 6, 1, 4), (0, 7, 1, 0), (0, 7, 1, 4)] */
v_mul_f32 v[vgprValuC+12], s[sgprAlpha], v[vgprValuC+12] // *= alpha
v_mul_f32 v[vgprValuC+13], s[sgprAlpha], v[vgprValuC+13] // *= alpha
	;; [unrolled: 1-line block ×24, first 2 shown]
s_waitcnt vmcnt(0)                                 // wait C

/* apply mask, calc new C and issue writes */
_v_mac_f32 v[vgprValuC+12], v8, s[sgprBeta]        // finalSum = sum*alpha + C*beta
_v_mac_f32 v[vgprValuC+13], v9, s[sgprBeta]        // finalSum = sum*alpha + C*beta
_v_mac_f32 v[vgprValuC+14], v10, s[sgprBeta]       // finalSum = sum*alpha + C*beta
_v_mac_f32 v[vgprValuC+15], v11, s[sgprBeta]       // finalSum = sum*alpha + C*beta
_buffer_store_b128 v[12:15], v6, s[sgprSrdD:sgprSrdD+3], 0, offen, offset:0 // store D
_v_mac_f32 v[vgprValuC+20], v16, s[sgprBeta]       // finalSum = sum*alpha + C*beta
_v_mac_f32 v[vgprValuC+21], v17, s[sgprBeta]       // finalSum = sum*alpha + C*beta
_v_mac_f32 v[vgprValuC+22], v18, s[sgprBeta]       // finalSum = sum*alpha + C*beta
_v_mac_f32 v[vgprValuC+23], v19, s[sgprBeta]       // finalSum = sum*alpha + C*beta
_buffer_store_b128 v[20:23], v7, s[sgprSrdD:sgprSrdD+3], 0, offen, offset:0 // store D
_v_mac_f32 v[vgprValuC+32], v28, s[sgprBeta]       // finalSum = sum*alpha + C*beta
_v_mac_f32 v[vgprValuC+33], v29, s[sgprBeta]       // finalSum = sum*alpha + C*beta
	;; [unrolled: 5-line block ×5, first 2 shown]
_v_mac_f32 v[vgprValuC+62], v58, s[sgprBeta]       // finalSum = sum*alpha + C*beta
_v_mac_f32 v[vgprValuC+63], v59, s[sgprBeta]       // finalSum = sum*alpha + C*beta
_buffer_store_b128 v[60:63], v27, s[sgprSrdD:sgprSrdD+3], 0, offen, offset:0 // store D
s_nop 0                                            // 1 wait state required when next inst writes vgprs held by previous dwordx4 store inst
s_branch label_GW_End_178                          // jump to end
label_GW_End_178:

label_0183:  /// KernelEnd
s_endpgm                                           // Kernel End

